;; amdgpu-corpus repo=ROCm/rocFFT kind=compiled arch=gfx906 opt=O3
	.text
	.amdgcn_target "amdgcn-amd-amdhsa--gfx906"
	.amdhsa_code_object_version 6
	.protected	fft_rtc_back_len169_factors_13_13_wgs_156_tpt_13_dp_ip_CI_sbcc_twdbase8_3step_dirReg ; -- Begin function fft_rtc_back_len169_factors_13_13_wgs_156_tpt_13_dp_ip_CI_sbcc_twdbase8_3step_dirReg
	.globl	fft_rtc_back_len169_factors_13_13_wgs_156_tpt_13_dp_ip_CI_sbcc_twdbase8_3step_dirReg
	.p2align	8
	.type	fft_rtc_back_len169_factors_13_13_wgs_156_tpt_13_dp_ip_CI_sbcc_twdbase8_3step_dirReg,@function
fft_rtc_back_len169_factors_13_13_wgs_156_tpt_13_dp_ip_CI_sbcc_twdbase8_3step_dirReg: ; @fft_rtc_back_len169_factors_13_13_wgs_156_tpt_13_dp_ip_CI_sbcc_twdbase8_3step_dirReg
; %bb.0:
	s_mov_b64 s[58:59], s[2:3]
	s_mov_b64 s[56:57], s[0:1]
	s_load_dwordx4 s[0:3], s[4:5], 0x18
	s_add_u32 s56, s56, s7
	s_addc_u32 s57, s57, 0
	v_mov_b32_e32 v156, v0
	s_mov_b32 s7, 0
	s_waitcnt lgkmcnt(0)
	s_load_dwordx2 s[18:19], s[0:1], 0x8
	s_mov_b64 s[22:23], 0
	s_waitcnt lgkmcnt(0)
	s_add_u32 s8, s18, -1
	s_addc_u32 s9, s19, -1
	s_add_u32 s10, 0, 0x55540000
	s_addc_u32 s11, 0, 0x55
	s_mul_hi_u32 s13, s10, -12
	s_add_i32 s11, s11, 0x15555500
	s_sub_i32 s13, s13, s10
	s_mul_i32 s16, s11, -12
	s_mul_i32 s12, s10, -12
	s_add_i32 s13, s13, s16
	s_mul_hi_u32 s14, s11, s12
	s_mul_i32 s15, s11, s12
	s_mul_i32 s17, s10, s13
	s_mul_hi_u32 s12, s10, s12
	s_mul_hi_u32 s16, s10, s13
	s_add_u32 s12, s12, s17
	s_addc_u32 s16, 0, s16
	s_add_u32 s12, s12, s15
	s_mul_hi_u32 s17, s11, s13
	s_addc_u32 s12, s16, s14
	s_addc_u32 s14, s17, 0
	s_mul_i32 s13, s11, s13
	s_add_u32 s12, s12, s13
	v_mov_b32_e32 v0, s12
	s_addc_u32 s13, 0, s14
	v_add_co_u32_e32 v0, vcc, s10, v0
	s_cmp_lg_u64 vcc, 0
	s_addc_u32 s10, s11, s13
	v_readfirstlane_b32 s13, v0
	s_mul_i32 s12, s8, s10
	s_mul_hi_u32 s14, s8, s13
	s_mul_hi_u32 s11, s8, s10
	s_add_u32 s12, s14, s12
	s_addc_u32 s11, 0, s11
	s_mul_hi_u32 s15, s9, s13
	s_mul_i32 s13, s9, s13
	s_add_u32 s12, s12, s13
	s_mul_hi_u32 s14, s9, s10
	s_addc_u32 s11, s11, s15
	s_addc_u32 s12, s14, 0
	s_mul_i32 s10, s9, s10
	s_add_u32 s10, s11, s10
	s_addc_u32 s11, 0, s12
	s_add_u32 s12, s10, 1
	s_addc_u32 s13, s11, 0
	s_add_u32 s14, s10, 2
	s_mul_i32 s16, s11, 12
	s_mul_hi_u32 s17, s10, 12
	s_addc_u32 s15, s11, 0
	s_add_i32 s17, s17, s16
	s_mul_i32 s16, s10, 12
	v_mov_b32_e32 v0, s16
	v_sub_co_u32_e32 v0, vcc, s8, v0
	s_cmp_lg_u64 vcc, 0
	s_subb_u32 s8, s9, s17
	v_subrev_co_u32_e32 v1, vcc, 12, v0
	s_cmp_lg_u64 vcc, 0
	s_subb_u32 s9, s8, 0
	v_readfirstlane_b32 s16, v1
	s_cmp_gt_u32 s16, 11
	s_cselect_b32 s16, -1, 0
	s_cmp_eq_u32 s9, 0
	s_cselect_b32 s9, s16, -1
	s_cmp_lg_u32 s9, 0
	s_cselect_b32 s9, s14, s12
	s_cselect_b32 s12, s15, s13
	v_readfirstlane_b32 s13, v0
	s_cmp_gt_u32 s13, 11
	s_cselect_b32 s13, -1, 0
	s_cmp_eq_u32 s8, 0
	s_cselect_b32 s8, s13, -1
	s_cmp_lg_u32 s8, 0
	s_cselect_b32 s9, s9, s10
	s_cselect_b32 s8, s12, s11
	s_add_u32 s20, s9, 1
	s_addc_u32 s21, s8, 0
	v_mov_b32_e32 v1, s20
	v_mov_b32_e32 v2, s21
	v_cmp_lt_u64_e32 vcc, s[6:7], v[1:2]
	s_cbranch_vccnz .LBB0_2
; %bb.1:
	v_cvt_f32_u32_e32 v0, s20
	s_sub_i32 s8, 0, s20
	s_mov_b32 s23, s7
	v_rcp_iflag_f32_e32 v0, v0
	v_mul_f32_e32 v0, 0x4f7ffffe, v0
	v_cvt_u32_f32_e32 v0, v0
	v_readfirstlane_b32 s9, v0
	s_mul_i32 s8, s8, s9
	s_mul_hi_u32 s8, s9, s8
	s_add_i32 s9, s9, s8
	s_mul_hi_u32 s8, s6, s9
	s_mul_i32 s10, s8, s20
	s_sub_i32 s10, s6, s10
	s_add_i32 s9, s8, 1
	s_sub_i32 s11, s10, s20
	s_cmp_ge_u32 s10, s20
	s_cselect_b32 s8, s9, s8
	s_cselect_b32 s10, s11, s10
	s_add_i32 s9, s8, 1
	s_cmp_ge_u32 s10, s20
	s_cselect_b32 s22, s9, s8
.LBB0_2:
	s_load_dwordx2 s[16:17], s[4:5], 0x58
	s_load_dwordx4 s[8:11], s[2:3], 0x0
	s_load_dwordx2 s[40:41], s[4:5], 0x0
	s_load_dwordx4 s[12:15], s[4:5], 0x8
	s_mul_i32 s4, s22, s21
	s_mul_hi_u32 s5, s22, s20
	s_add_i32 s5, s5, s4
	s_mul_i32 s4, s22, s20
	s_sub_u32 s36, s6, s4
	s_subb_u32 s4, 0, s5
	s_mul_i32 s4, s4, 12
	s_mul_hi_u32 s33, s36, 12
	s_add_i32 s33, s33, s4
	s_mul_i32 s36, s36, 12
	s_waitcnt lgkmcnt(0)
	s_mul_i32 s4, s10, s33
	s_mul_hi_u32 s5, s10, s36
	s_add_i32 s4, s5, s4
	s_mul_i32 s5, s11, s36
	s_add_i32 s37, s4, s5
	v_cmp_lt_u64_e64 s[4:5], s[14:15], 3
	s_mul_i32 s38, s10, s36
	s_and_b64 vcc, exec, s[4:5]
	s_cbranch_vccnz .LBB0_12
; %bb.3:
	s_add_u32 s4, s2, 16
	s_addc_u32 s5, s3, 0
	s_add_u32 s24, s0, 16
	v_mov_b32_e32 v1, s14
	s_addc_u32 s25, s1, 0
	s_mov_b64 s[26:27], 2
	s_mov_b32 s28, 0
	v_mov_b32_e32 v2, s15
.LBB0_4:                                ; =>This Inner Loop Header: Depth=1
	s_load_dwordx2 s[30:31], s[24:25], 0x0
	s_waitcnt lgkmcnt(0)
	s_or_b64 s[0:1], s[22:23], s[30:31]
	s_mov_b32 s29, s1
	s_cmp_lg_u64 s[28:29], 0
	s_cbranch_scc0 .LBB0_9
; %bb.5:                                ;   in Loop: Header=BB0_4 Depth=1
	v_cvt_f32_u32_e32 v0, s30
	v_cvt_f32_u32_e32 v3, s31
	s_sub_u32 s0, 0, s30
	s_subb_u32 s1, 0, s31
	v_mac_f32_e32 v0, 0x4f800000, v3
	v_rcp_f32_e32 v0, v0
	v_mul_f32_e32 v0, 0x5f7ffffc, v0
	v_mul_f32_e32 v3, 0x2f800000, v0
	v_trunc_f32_e32 v3, v3
	v_mac_f32_e32 v0, 0xcf800000, v3
	v_cvt_u32_f32_e32 v3, v3
	v_cvt_u32_f32_e32 v0, v0
	v_readfirstlane_b32 s29, v3
	v_readfirstlane_b32 s34, v0
	s_mul_i32 s35, s0, s29
	s_mul_hi_u32 s42, s0, s34
	s_mul_i32 s39, s1, s34
	s_add_i32 s35, s42, s35
	s_mul_i32 s43, s0, s34
	s_add_i32 s35, s35, s39
	s_mul_hi_u32 s39, s34, s35
	s_mul_i32 s42, s34, s35
	s_mul_hi_u32 s34, s34, s43
	s_add_u32 s34, s34, s42
	s_addc_u32 s39, 0, s39
	s_mul_hi_u32 s44, s29, s43
	s_mul_i32 s43, s29, s43
	s_add_u32 s34, s34, s43
	s_mul_hi_u32 s42, s29, s35
	s_addc_u32 s34, s39, s44
	s_addc_u32 s39, s42, 0
	s_mul_i32 s35, s29, s35
	s_add_u32 s34, s34, s35
	s_addc_u32 s35, 0, s39
	v_add_co_u32_e32 v0, vcc, s34, v0
	s_cmp_lg_u64 vcc, 0
	s_addc_u32 s29, s29, s35
	v_readfirstlane_b32 s35, v0
	s_mul_i32 s34, s0, s29
	s_mul_hi_u32 s39, s0, s35
	s_add_i32 s34, s39, s34
	s_mul_i32 s1, s1, s35
	s_add_i32 s34, s34, s1
	s_mul_i32 s0, s0, s35
	s_mul_hi_u32 s39, s29, s0
	s_mul_i32 s42, s29, s0
	s_mul_i32 s44, s35, s34
	s_mul_hi_u32 s0, s35, s0
	s_mul_hi_u32 s43, s35, s34
	s_add_u32 s0, s0, s44
	s_addc_u32 s35, 0, s43
	s_add_u32 s0, s0, s42
	s_mul_hi_u32 s1, s29, s34
	s_addc_u32 s0, s35, s39
	s_addc_u32 s1, s1, 0
	s_mul_i32 s34, s29, s34
	s_add_u32 s0, s0, s34
	s_addc_u32 s1, 0, s1
	v_add_co_u32_e32 v0, vcc, s0, v0
	s_cmp_lg_u64 vcc, 0
	s_addc_u32 s0, s29, s1
	v_readfirstlane_b32 s34, v0
	s_mul_i32 s29, s22, s0
	s_mul_hi_u32 s35, s22, s34
	s_mul_hi_u32 s1, s22, s0
	s_add_u32 s29, s35, s29
	s_addc_u32 s1, 0, s1
	s_mul_hi_u32 s39, s23, s34
	s_mul_i32 s34, s23, s34
	s_add_u32 s29, s29, s34
	s_mul_hi_u32 s35, s23, s0
	s_addc_u32 s1, s1, s39
	s_addc_u32 s29, s35, 0
	s_mul_i32 s0, s23, s0
	s_add_u32 s34, s1, s0
	s_addc_u32 s29, 0, s29
	s_mul_i32 s0, s30, s29
	s_mul_hi_u32 s1, s30, s34
	s_add_i32 s0, s1, s0
	s_mul_i32 s1, s31, s34
	s_add_i32 s35, s0, s1
	s_mul_i32 s1, s30, s34
	v_mov_b32_e32 v0, s1
	s_sub_i32 s0, s23, s35
	v_sub_co_u32_e32 v0, vcc, s22, v0
	s_cmp_lg_u64 vcc, 0
	s_subb_u32 s39, s0, s31
	v_subrev_co_u32_e64 v3, s[0:1], s30, v0
	s_cmp_lg_u64 s[0:1], 0
	s_subb_u32 s0, s39, 0
	s_cmp_ge_u32 s0, s31
	v_readfirstlane_b32 s39, v3
	s_cselect_b32 s1, -1, 0
	s_cmp_ge_u32 s39, s30
	s_cselect_b32 s39, -1, 0
	s_cmp_eq_u32 s0, s31
	s_cselect_b32 s0, s39, s1
	s_add_u32 s1, s34, 1
	s_addc_u32 s39, s29, 0
	s_add_u32 s42, s34, 2
	s_addc_u32 s43, s29, 0
	s_cmp_lg_u32 s0, 0
	s_cselect_b32 s0, s42, s1
	s_cselect_b32 s1, s43, s39
	s_cmp_lg_u64 vcc, 0
	s_subb_u32 s35, s23, s35
	s_cmp_ge_u32 s35, s31
	v_readfirstlane_b32 s42, v0
	s_cselect_b32 s39, -1, 0
	s_cmp_ge_u32 s42, s30
	s_cselect_b32 s42, -1, 0
	s_cmp_eq_u32 s35, s31
	s_cselect_b32 s35, s42, s39
	s_cmp_lg_u32 s35, 0
	s_cselect_b32 s1, s1, s29
	s_cselect_b32 s0, s0, s34
	s_cbranch_execnz .LBB0_7
.LBB0_6:                                ;   in Loop: Header=BB0_4 Depth=1
	v_cvt_f32_u32_e32 v0, s30
	s_sub_i32 s0, 0, s30
	v_rcp_iflag_f32_e32 v0, v0
	v_mul_f32_e32 v0, 0x4f7ffffe, v0
	v_cvt_u32_f32_e32 v0, v0
	v_readfirstlane_b32 s1, v0
	s_mul_i32 s0, s0, s1
	s_mul_hi_u32 s0, s1, s0
	s_add_i32 s1, s1, s0
	s_mul_hi_u32 s0, s22, s1
	s_mul_i32 s29, s0, s30
	s_sub_i32 s29, s22, s29
	s_add_i32 s1, s0, 1
	s_sub_i32 s34, s29, s30
	s_cmp_ge_u32 s29, s30
	s_cselect_b32 s0, s1, s0
	s_cselect_b32 s29, s34, s29
	s_add_i32 s1, s0, 1
	s_cmp_ge_u32 s29, s30
	s_cselect_b32 s0, s1, s0
	s_mov_b32 s1, s28
.LBB0_7:                                ;   in Loop: Header=BB0_4 Depth=1
	s_mul_i32 s21, s30, s21
	s_mul_hi_u32 s29, s30, s20
	s_add_i32 s21, s29, s21
	s_mul_i32 s29, s31, s20
	s_add_i32 s21, s21, s29
	s_mul_i32 s29, s0, s31
	s_mul_hi_u32 s31, s0, s30
	s_load_dwordx2 s[34:35], s[4:5], 0x0
	s_add_i32 s29, s31, s29
	s_mul_i32 s31, s1, s30
	s_mul_i32 s20, s30, s20
	s_add_i32 s29, s29, s31
	s_mul_i32 s30, s0, s30
	s_sub_u32 s22, s22, s30
	s_subb_u32 s23, s23, s29
	s_waitcnt lgkmcnt(0)
	s_mul_i32 s23, s34, s23
	s_mul_hi_u32 s29, s34, s22
	s_add_i32 s23, s29, s23
	s_mul_i32 s29, s35, s22
	s_add_i32 s23, s23, s29
	s_mul_i32 s22, s34, s22
	s_add_u32 s38, s22, s38
	s_addc_u32 s37, s23, s37
	s_add_u32 s26, s26, 1
	s_addc_u32 s27, s27, 0
	;; [unrolled: 2-line block ×3, first 2 shown]
	v_cmp_ge_u64_e32 vcc, s[26:27], v[1:2]
	s_add_u32 s24, s24, 8
	s_addc_u32 s25, s25, 0
	s_cbranch_vccnz .LBB0_10
; %bb.8:                                ;   in Loop: Header=BB0_4 Depth=1
	s_mov_b64 s[22:23], s[0:1]
	s_branch .LBB0_4
.LBB0_9:                                ;   in Loop: Header=BB0_4 Depth=1
                                        ; implicit-def: $sgpr0_sgpr1
	s_branch .LBB0_6
.LBB0_10:
	v_mov_b32_e32 v1, s20
	v_mov_b32_e32 v2, s21
	v_cmp_lt_u64_e32 vcc, s[6:7], v[1:2]
	s_mov_b64 s[22:23], 0
	s_cbranch_vccnz .LBB0_12
; %bb.11:
	v_cvt_f32_u32_e32 v0, s20
	s_sub_i32 s0, 0, s20
	v_rcp_iflag_f32_e32 v0, v0
	v_mul_f32_e32 v0, 0x4f7ffffe, v0
	v_cvt_u32_f32_e32 v0, v0
	v_readfirstlane_b32 s1, v0
	s_mul_i32 s0, s0, s1
	s_mul_hi_u32 s0, s1, s0
	s_add_i32 s1, s1, s0
	s_mul_hi_u32 s0, s6, s1
	s_mul_i32 s4, s0, s20
	s_sub_i32 s4, s6, s4
	s_add_i32 s1, s0, 1
	s_sub_i32 s5, s4, s20
	s_cmp_ge_u32 s4, s20
	s_cselect_b32 s0, s1, s0
	s_cselect_b32 s4, s5, s4
	s_add_i32 s1, s0, 1
	s_cmp_ge_u32 s4, s20
	s_cselect_b32 s22, s1, s0
.LBB0_12:
	s_lshl_b64 s[0:1], s[14:15], 3
	s_add_u32 s0, s2, s0
	s_addc_u32 s1, s3, s1
	s_load_dwordx2 s[0:1], s[0:1], 0x0
	v_mul_u32_u24_e32 v0, 0x1556, v156
	v_lshrrev_b32_e32 v82, 16, v0
	v_mul_lo_u16_e32 v0, 12, v82
	v_sub_u16_e32 v255, v156, v0
	s_waitcnt lgkmcnt(0)
	s_mul_i32 s1, s1, s22
	s_mul_hi_u32 s2, s0, s22
	s_mul_i32 s0, s0, s22
	s_add_i32 s1, s2, s1
	s_add_u32 s2, s0, s38
	s_addc_u32 s3, s1, s37
	v_mov_b32_e32 v0, s33
	v_add_co_u32_e32 v53, vcc, s36, v255
	s_add_u32 s0, s36, 12
	v_mov_b32_e32 v1, s18
	v_addc_co_u32_e32 v54, vcc, 0, v0, vcc
	s_addc_u32 s1, s33, 0
	v_mov_b32_e32 v2, s19
	v_cmp_le_u64_e32 vcc, s[0:1], v[1:2]
	v_cmp_gt_u64_e64 s[0:1], s[18:19], v[53:54]
                                        ; kill: def $vgpr1_vgpr2 killed $sgpr0_sgpr1 killed $exec
                                        ; implicit-def: $vgpr7_vgpr8
                                        ; implicit-def: $vgpr11_vgpr12
                                        ; implicit-def: $vgpr15_vgpr16
                                        ; implicit-def: $vgpr19_vgpr20
                                        ; implicit-def: $vgpr23_vgpr24
                                        ; implicit-def: $vgpr27_vgpr28
                                        ; implicit-def: $vgpr31_vgpr32
                                        ; implicit-def: $vgpr35_vgpr36
                                        ; implicit-def: $vgpr47_vgpr48
                                        ; implicit-def: $vgpr51_vgpr52
                                        ; implicit-def: $vgpr43_vgpr44
                                        ; implicit-def: $vgpr39_vgpr40
                                        ; implicit-def: $vgpr3_vgpr4
	s_or_b64 s[48:49], vcc, s[0:1]
	s_and_saveexec_b64 s[0:1], s[48:49]
	s_cbranch_execz .LBB0_14
; %bb.13:
	v_mad_u64_u32 v[1:2], s[4:5], s10, v255, 0
	v_mad_u64_u32 v[3:4], s[4:5], s8, v82, 0
	;; [unrolled: 1-line block ×3, first 2 shown]
	v_mov_b32_e32 v2, v4
	v_mad_u64_u32 v[6:7], s[4:5], s9, v82, v[2:3]
	s_lshl_b64 s[4:5], s[2:3], 4
	s_add_u32 s6, s16, s4
	s_addc_u32 s4, s17, s5
	v_add_u32_e32 v7, 13, v82
	v_mov_b32_e32 v2, v5
	v_mov_b32_e32 v4, v6
	;; [unrolled: 1-line block ×3, first 2 shown]
	v_mad_u64_u32 v[5:6], s[4:5], s8, v7, 0
	v_lshlrev_b64 v[1:2], 4, v[1:2]
	v_add_co_u32_e32 v9, vcc, s6, v1
	v_addc_co_u32_e32 v0, vcc, v0, v2, vcc
	v_lshlrev_b64 v[1:2], 4, v[3:4]
	v_mov_b32_e32 v3, v6
	v_mad_u64_u32 v[3:4], s[4:5], s9, v7, v[3:4]
	v_add_u32_e32 v4, 26, v82
	v_mad_u64_u32 v[7:8], s[4:5], s8, v4, 0
	v_add_co_u32_e32 v54, vcc, v9, v1
	v_mov_b32_e32 v6, v3
	v_mov_b32_e32 v3, v8
	v_addc_co_u32_e32 v55, vcc, v0, v2, vcc
	v_lshlrev_b64 v[1:2], 4, v[5:6]
	v_mad_u64_u32 v[3:4], s[4:5], s9, v4, v[3:4]
	v_add_u32_e32 v6, 39, v82
	v_mad_u64_u32 v[4:5], s[4:5], s8, v6, 0
	v_add_co_u32_e32 v56, vcc, v9, v1
	v_mov_b32_e32 v8, v3
	v_mov_b32_e32 v3, v5
	v_addc_co_u32_e32 v57, vcc, v0, v2, vcc
	v_lshlrev_b64 v[1:2], 4, v[7:8]
	v_mad_u64_u32 v[5:6], s[4:5], s9, v6, v[3:4]
	v_add_u32_e32 v8, 52, v82
	v_mad_u64_u32 v[6:7], s[4:5], s8, v8, 0
	v_add_co_u32_e32 v58, vcc, v9, v1
	v_mov_b32_e32 v3, v7
	v_addc_co_u32_e32 v59, vcc, v0, v2, vcc
	v_lshlrev_b64 v[1:2], 4, v[4:5]
	v_mad_u64_u32 v[3:4], s[4:5], s9, v8, v[3:4]
	v_add_u32_e32 v8, 0x41, v82
	v_mad_u64_u32 v[4:5], s[4:5], s8, v8, 0
	v_add_co_u32_e32 v60, vcc, v9, v1
	v_mov_b32_e32 v7, v3
	v_mov_b32_e32 v3, v5
	v_addc_co_u32_e32 v61, vcc, v0, v2, vcc
	v_lshlrev_b64 v[1:2], 4, v[6:7]
	v_mad_u64_u32 v[5:6], s[4:5], s9, v8, v[3:4]
	v_add_u32_e32 v8, 0x4e, v82
	v_mad_u64_u32 v[6:7], s[4:5], s8, v8, 0
	v_add_co_u32_e32 v62, vcc, v9, v1
	;; [unrolled: 15-line block ×5, first 2 shown]
	v_mov_b32_e32 v3, v7
	v_addc_co_u32_e32 v75, vcc, v0, v2, vcc
	v_lshlrev_b64 v[1:2], 4, v[4:5]
	v_mad_u64_u32 v[3:4], s[4:5], s9, v8, v[3:4]
	v_add_co_u32_e32 v76, vcc, v9, v1
	v_mov_b32_e32 v7, v3
	v_addc_co_u32_e32 v77, vcc, v0, v2, vcc
	v_lshlrev_b64 v[1:2], 4, v[6:7]
	v_add_co_u32_e32 v78, vcc, v9, v1
	v_addc_co_u32_e32 v79, vcc, v0, v2, vcc
	global_load_dwordx4 v[1:4], v[54:55], off
	global_load_dwordx4 v[37:40], v[56:57], off
	;; [unrolled: 1-line block ×13, first 2 shown]
.LBB0_14:
	s_or_b64 exec, exec, s[0:1]
	s_waitcnt vmcnt(11)
	v_add_f64 v[64:65], v[39:40], v[3:4]
	v_add_f64 v[62:63], v[37:38], v[1:2]
	s_waitcnt vmcnt(4)
	v_add_f64 v[72:73], v[35:36], -v[23:24]
	v_add_f64 v[54:55], v[27:28], v[31:32]
	v_add_f64 v[60:61], v[31:32], -v[27:28]
	v_add_f64 v[66:67], v[33:34], -v[21:22]
	v_add_f64 v[56:57], v[25:26], v[29:30]
	v_add_f64 v[58:59], v[29:30], -v[25:26]
	v_add_f64 v[76:77], v[43:44], v[64:65]
	v_add_f64 v[74:75], v[41:42], v[62:63]
	;; [unrolled: 1-line block ×4, first 2 shown]
	s_waitcnt vmcnt(3)
	v_add_f64 v[70:71], v[19:20], v[47:48]
	v_add_f64 v[80:81], v[47:48], -v[19:20]
	v_add_f64 v[68:69], v[17:18], v[45:46]
	s_waitcnt vmcnt(2)
	v_add_f64 v[78:79], v[15:16], v[51:52]
	v_add_f64 v[85:86], v[51:52], v[76:77]
	;; [unrolled: 1-line block ×3, first 2 shown]
	v_add_f64 v[74:75], v[45:46], -v[17:18]
	v_add_f64 v[51:52], v[51:52], -v[15:16]
	v_add_f64 v[76:77], v[13:14], v[49:50]
	v_add_f64 v[49:50], v[49:50], -v[13:14]
	s_waitcnt vmcnt(0)
	v_add_f64 v[87:88], v[5:6], v[37:38]
	v_add_f64 v[89:90], v[7:8], v[39:40]
	;; [unrolled: 1-line block ×5, first 2 shown]
	v_add_f64 v[43:44], v[43:44], -v[11:12]
	v_add_f64 v[37:38], v[37:38], -v[5:6]
	;; [unrolled: 1-line block ×3, first 2 shown]
	s_mov_b32 s50, 0x4267c47c
	s_mov_b32 s34, 0x42a4c3d2
	v_add_f64 v[35:36], v[35:36], v[85:86]
	v_add_f64 v[33:34], v[33:34], v[83:84]
	s_mov_b32 s38, 0x66966769
	s_mov_b32 s24, 0x2ef20147
	;; [unrolled: 1-line block ×6, first 2 shown]
	v_add_f64 v[31:32], v[31:32], v[35:36]
	v_add_f64 v[29:30], v[29:30], v[33:34]
	s_mov_b32 s39, 0xbfefc445
	s_mov_b32 s25, 0xbfedeba7
	;; [unrolled: 1-line block ×4, first 2 shown]
	v_add_f64 v[45:46], v[9:10], v[41:42]
	v_add_f64 v[41:42], v[41:42], -v[9:10]
	v_add_f64 v[27:28], v[27:28], v[31:32]
	v_add_f64 v[25:26], v[25:26], v[29:30]
	v_mul_f64 v[29:30], v[39:40], s[26:27]
	s_mov_b32 s0, 0xe00740e9
	s_mov_b32 s4, 0x1ea71119
	;; [unrolled: 1-line block ×5, first 2 shown]
	v_add_f64 v[23:24], v[23:24], v[27:28]
	v_add_f64 v[21:22], v[21:22], v[25:26]
	v_mul_f64 v[25:26], v[39:40], s[38:39]
	v_mul_f64 v[27:28], v[39:40], s[24:25]
	s_mov_b32 s20, 0x93053d00
	s_mov_b32 s1, 0x3fec55a7
	;; [unrolled: 1-line block ×4, first 2 shown]
	v_add_f64 v[19:20], v[19:20], v[23:24]
	v_add_f64 v[17:18], v[17:18], v[21:22]
	v_mul_f64 v[21:22], v[39:40], s[50:51]
	v_mul_f64 v[23:24], v[39:40], s[34:35]
	s_mov_b32 s15, 0xbfd6b1d8
	s_mov_b32 s19, 0xbfe7f3cc
	;; [unrolled: 1-line block ×3, first 2 shown]
	v_fma_f64 v[35:36], v[87:88], s[18:19], v[29:30]
	v_add_f64 v[15:16], v[15:16], v[19:20]
	v_add_f64 v[13:14], v[13:14], v[17:18]
	v_mul_f64 v[17:18], v[39:40], s[22:23]
	v_mul_f64 v[19:20], v[37:38], s[50:51]
	v_fma_f64 v[31:32], v[87:88], s[0:1], v[21:22]
	v_fma_f64 v[21:22], v[87:88], s[0:1], -v[21:22]
	v_fma_f64 v[33:34], v[87:88], s[4:5], v[23:24]
	v_fma_f64 v[23:24], v[87:88], s[4:5], -v[23:24]
	v_add_f64 v[11:12], v[11:12], v[15:16]
	v_add_f64 v[9:10], v[9:10], v[13:14]
	v_fma_f64 v[13:14], v[87:88], s[6:7], v[25:26]
	v_fma_f64 v[15:16], v[87:88], s[6:7], -v[25:26]
	v_fma_f64 v[25:26], v[87:88], s[14:15], v[27:28]
	v_fma_f64 v[27:28], v[87:88], s[14:15], -v[27:28]
	v_fma_f64 v[29:30], v[87:88], s[18:19], -v[29:30]
	v_mul_f64 v[39:40], v[37:38], s[38:39]
	v_add_f64 v[7:8], v[7:8], v[11:12]
	v_mul_f64 v[11:12], v[37:38], s[34:35]
	v_add_f64 v[5:6], v[5:6], v[9:10]
	v_fma_f64 v[9:10], v[87:88], s[20:21], v[17:18]
	v_fma_f64 v[17:18], v[87:88], s[20:21], -v[17:18]
	v_mul_f64 v[85:86], v[37:38], s[24:25]
	v_mul_f64 v[87:88], v[37:38], s[26:27]
	;; [unrolled: 1-line block ×3, first 2 shown]
	v_fma_f64 v[83:84], v[89:90], s[0:1], -v[19:20]
	v_fma_f64 v[91:92], v[89:90], s[4:5], -v[11:12]
	v_fma_f64 v[11:12], v[89:90], s[4:5], v[11:12]
	v_fma_f64 v[19:20], v[89:90], s[0:1], v[19:20]
	v_fma_f64 v[93:94], v[89:90], s[6:7], -v[39:40]
	v_fma_f64 v[39:40], v[89:90], s[6:7], v[39:40]
	v_fma_f64 v[95:96], v[89:90], s[14:15], -v[85:86]
	;; [unrolled: 2-line block ×4, first 2 shown]
	v_fma_f64 v[37:38], v[89:90], s[20:21], v[37:38]
	v_add_f64 v[89:90], v[3:4], v[91:92]
	v_add_f64 v[91:92], v[3:4], v[11:12]
	;; [unrolled: 1-line block ×3, first 2 shown]
	v_mul_f64 v[11:12], v[43:44], s[34:35]
	v_mul_f64 v[13:14], v[41:42], s[34:35]
	v_add_f64 v[31:32], v[1:2], v[31:32]
	v_add_f64 v[83:84], v[3:4], v[83:84]
	v_add_f64 v[103:104], v[1:2], v[15:16]
	v_add_f64 v[105:106], v[1:2], v[27:28]
	v_mul_f64 v[107:108], v[51:52], s[38:39]
	v_mul_f64 v[109:110], v[49:50], s[38:39]
	v_fma_f64 v[15:16], v[45:46], s[4:5], v[11:12]
	v_fma_f64 v[27:28], v[47:48], s[4:5], -v[13:14]
	v_add_f64 v[111:112], v[1:2], v[29:30]
	v_add_f64 v[21:22], v[1:2], v[21:22]
	;; [unrolled: 1-line block ×4, first 2 shown]
	v_fma_f64 v[29:30], v[76:77], s[6:7], v[107:108]
	v_fma_f64 v[9:10], v[45:46], s[4:5], -v[11:12]
	v_add_f64 v[15:16], v[15:16], v[31:32]
	v_add_f64 v[27:28], v[27:28], v[83:84]
	v_fma_f64 v[31:32], v[78:79], s[6:7], -v[109:110]
	v_mul_f64 v[83:84], v[80:81], s[24:25]
	v_fma_f64 v[11:12], v[47:48], s[4:5], v[13:14]
	v_mul_f64 v[113:114], v[74:75], s[24:25]
	v_add_f64 v[33:34], v[1:2], v[33:34]
	v_add_f64 v[9:10], v[9:10], v[21:22]
	;; [unrolled: 1-line block ×3, first 2 shown]
	v_fma_f64 v[21:22], v[78:79], s[6:7], v[109:110]
	v_add_f64 v[15:16], v[31:32], v[27:28]
	v_fma_f64 v[27:28], v[68:69], s[14:15], v[83:84]
	v_mul_f64 v[31:32], v[72:73], s[26:27]
	v_add_f64 v[11:12], v[11:12], v[19:20]
	v_fma_f64 v[19:20], v[76:77], s[6:7], -v[107:108]
	v_add_f64 v[23:24], v[1:2], v[23:24]
	v_add_f64 v[93:94], v[3:4], v[93:94]
	;; [unrolled: 1-line block ×5, first 2 shown]
	v_fma_f64 v[27:28], v[62:63], s[18:19], v[31:32]
	v_add_f64 v[95:96], v[3:4], v[95:96]
	v_add_f64 v[85:86], v[3:4], v[85:86]
	;; [unrolled: 1-line block ×6, first 2 shown]
	v_fma_f64 v[29:30], v[70:71], s[14:15], -v[113:114]
	v_mul_f64 v[117:118], v[66:67], s[26:27]
	v_add_f64 v[107:108], v[1:2], v[17:18]
	v_add_f64 v[109:110], v[3:4], v[37:38]
	;; [unrolled: 1-line block ×4, first 2 shown]
	v_fma_f64 v[9:10], v[68:69], s[14:15], -v[83:84]
	v_fma_f64 v[11:12], v[70:71], s[14:15], v[113:114]
	v_add_f64 v[13:14], v[27:28], v[13:14]
	v_mul_f64 v[21:22], v[43:44], s[24:25]
	v_mul_f64 v[27:28], v[41:42], s[24:25]
	v_add_f64 v[15:16], v[29:30], v[15:16]
	v_fma_f64 v[29:30], v[64:65], s[18:19], -v[117:118]
	v_mul_f64 v[17:18], v[60:61], s[22:23]
	v_mul_f64 v[19:20], v[58:59], s[22:23]
	v_add_f64 v[1:2], v[9:10], v[1:2]
	v_add_f64 v[3:4], v[11:12], v[3:4]
	v_fma_f64 v[9:10], v[62:63], s[18:19], -v[31:32]
	v_fma_f64 v[11:12], v[64:65], s[18:19], v[117:118]
	v_fma_f64 v[37:38], v[45:46], s[14:15], v[21:22]
	v_fma_f64 v[83:84], v[47:48], s[14:15], -v[27:28]
	v_mul_f64 v[113:114], v[51:52], s[22:23]
	v_mul_f64 v[117:118], v[49:50], s[22:23]
	s_mov_b32 s45, 0x3fe5384d
	s_mov_b32 s44, s26
	v_add_f64 v[15:16], v[29:30], v[15:16]
	v_fma_f64 v[29:30], v[56:57], s[20:21], v[17:18]
	v_fma_f64 v[31:32], v[54:55], s[20:21], -v[19:20]
	v_add_f64 v[1:2], v[9:10], v[1:2]
	v_add_f64 v[3:4], v[11:12], v[3:4]
	v_fma_f64 v[17:18], v[56:57], s[20:21], -v[17:18]
	v_fma_f64 v[19:20], v[54:55], s[20:21], v[19:20]
	v_add_f64 v[33:34], v[37:38], v[33:34]
	v_add_f64 v[37:38], v[83:84], v[89:90]
	v_fma_f64 v[83:84], v[76:77], s[20:21], v[113:114]
	v_fma_f64 v[89:90], v[78:79], s[20:21], -v[117:118]
	v_mul_f64 v[119:120], v[80:81], s[44:45]
	v_mul_f64 v[121:122], v[74:75], s[44:45]
	s_mov_b32 s29, 0x3fefc445
	s_mov_b32 s28, s38
	v_add_f64 v[10:11], v[29:30], v[13:14]
	v_add_f64 v[12:13], v[31:32], v[15:16]
	v_add_f64 v[1:2], v[17:18], v[1:2]
	v_add_f64 v[3:4], v[19:20], v[3:4]
	v_add_f64 v[14:15], v[83:84], v[33:34]
	v_add_f64 v[16:17], v[89:90], v[37:38]
	v_fma_f64 v[18:19], v[68:69], s[18:19], v[119:120]
	v_fma_f64 v[29:30], v[70:71], s[18:19], -v[121:122]
	v_fma_f64 v[20:21], v[45:46], s[14:15], -v[21:22]
	v_fma_f64 v[27:28], v[47:48], s[14:15], v[27:28]
	v_mul_f64 v[31:32], v[72:73], s[28:29]
	v_mul_f64 v[33:34], v[66:67], s[28:29]
	s_mov_b32 s31, 0x3fddbe06
	s_mov_b32 s30, s50
	v_add_f64 v[14:15], v[18:19], v[14:15]
	v_add_f64 v[16:17], v[29:30], v[16:17]
	;; [unrolled: 1-line block ×4, first 2 shown]
	v_fma_f64 v[22:23], v[76:77], s[20:21], -v[113:114]
	v_fma_f64 v[27:28], v[78:79], s[20:21], v[117:118]
	v_fma_f64 v[29:30], v[62:63], s[6:7], v[31:32]
	v_fma_f64 v[37:38], v[64:65], s[6:7], -v[33:34]
	v_mul_f64 v[83:84], v[60:61], s[30:31]
	s_mov_b32 s47, 0x3fedeba7
	s_mov_b32 s46, s24
	v_mul_f64 v[89:90], v[58:59], s[30:31]
	v_add_f64 v[18:19], v[22:23], v[18:19]
	v_add_f64 v[20:21], v[27:28], v[20:21]
	v_fma_f64 v[22:23], v[68:69], s[18:19], -v[119:120]
	v_fma_f64 v[27:28], v[70:71], s[18:19], v[121:122]
	v_add_f64 v[14:15], v[29:30], v[14:15]
	v_add_f64 v[16:17], v[37:38], v[16:17]
	v_mul_f64 v[29:30], v[43:44], s[22:23]
	v_mul_f64 v[37:38], v[41:42], s[22:23]
	v_fma_f64 v[91:92], v[56:57], s[0:1], v[83:84]
	v_mul_f64 v[117:118], v[51:52], s[46:47]
	v_add_f64 v[18:19], v[22:23], v[18:19]
	v_add_f64 v[20:21], v[27:28], v[20:21]
	v_fma_f64 v[22:23], v[62:63], s[6:7], -v[31:32]
	v_fma_f64 v[27:28], v[64:65], s[6:7], v[33:34]
	v_fma_f64 v[31:32], v[45:46], s[20:21], v[29:30]
	v_fma_f64 v[33:34], v[47:48], s[20:21], -v[37:38]
	v_mul_f64 v[119:120], v[49:50], s[46:47]
	v_fma_f64 v[113:114], v[54:55], s[0:1], -v[89:90]
	v_add_f64 v[14:15], v[91:92], v[14:15]
	v_mul_f64 v[91:92], v[80:81], s[30:31]
	v_add_f64 v[18:19], v[22:23], v[18:19]
	v_add_f64 v[20:21], v[27:28], v[20:21]
	;; [unrolled: 1-line block ×4, first 2 shown]
	v_fma_f64 v[31:32], v[76:77], s[14:15], v[117:118]
	v_fma_f64 v[33:34], v[78:79], s[14:15], -v[119:120]
	v_mul_f64 v[93:94], v[74:75], s[30:31]
	v_fma_f64 v[29:30], v[45:46], s[20:21], -v[29:30]
	v_fma_f64 v[37:38], v[47:48], s[20:21], v[37:38]
	v_add_f64 v[16:17], v[113:114], v[16:17]
	v_fma_f64 v[83:84], v[56:57], s[0:1], -v[83:84]
	v_fma_f64 v[89:90], v[54:55], s[0:1], v[89:90]
	v_add_f64 v[22:23], v[31:32], v[22:23]
	v_add_f64 v[27:28], v[33:34], v[27:28]
	v_fma_f64 v[31:32], v[68:69], s[0:1], v[91:92]
	v_fma_f64 v[33:34], v[70:71], s[0:1], -v[93:94]
	v_mul_f64 v[101:102], v[72:73], s[34:35]
	v_mul_f64 v[113:114], v[66:67], s[34:35]
	v_add_f64 v[29:30], v[29:30], v[103:104]
	v_add_f64 v[37:38], v[37:38], v[39:40]
	v_fma_f64 v[39:40], v[76:77], s[14:15], -v[117:118]
	v_fma_f64 v[103:104], v[78:79], s[14:15], v[119:120]
	v_add_f64 v[22:23], v[31:32], v[22:23]
	v_add_f64 v[27:28], v[33:34], v[27:28]
	v_fma_f64 v[31:32], v[62:63], s[4:5], v[101:102]
	v_fma_f64 v[33:34], v[64:65], s[4:5], -v[113:114]
	v_add_f64 v[18:19], v[83:84], v[18:19]
	v_add_f64 v[20:21], v[89:90], v[20:21]
	;; [unrolled: 1-line block ×4, first 2 shown]
	v_fma_f64 v[39:40], v[68:69], s[0:1], -v[91:92]
	v_fma_f64 v[83:84], v[70:71], s[0:1], v[93:94]
	v_mul_f64 v[89:90], v[43:44], s[44:45]
	v_mul_f64 v[91:92], v[41:42], s[44:45]
	v_add_f64 v[22:23], v[31:32], v[22:23]
	v_add_f64 v[27:28], v[33:34], v[27:28]
	v_mul_f64 v[31:32], v[60:61], s[26:27]
	v_mul_f64 v[33:34], v[58:59], s[26:27]
	v_add_f64 v[29:30], v[39:40], v[29:30]
	v_add_f64 v[37:38], v[83:84], v[37:38]
	v_fma_f64 v[39:40], v[62:63], s[4:5], -v[101:102]
	v_fma_f64 v[83:84], v[64:65], s[4:5], v[113:114]
	v_fma_f64 v[103:104], v[45:46], s[18:19], v[89:90]
	v_fma_f64 v[113:114], v[47:48], s[18:19], -v[91:92]
	v_mul_f64 v[117:118], v[51:52], s[30:31]
	v_mul_f64 v[119:120], v[49:50], s[30:31]
	v_fma_f64 v[93:94], v[56:57], s[18:19], v[31:32]
	v_fma_f64 v[101:102], v[54:55], s[18:19], -v[33:34]
	v_add_f64 v[29:30], v[39:40], v[29:30]
	v_add_f64 v[37:38], v[83:84], v[37:38]
	v_fma_f64 v[31:32], v[56:57], s[18:19], -v[31:32]
	v_fma_f64 v[33:34], v[54:55], s[18:19], v[33:34]
	v_add_f64 v[39:40], v[103:104], v[25:26]
	v_add_f64 v[83:84], v[113:114], v[95:96]
	v_fma_f64 v[95:96], v[76:77], s[0:1], v[117:118]
	v_fma_f64 v[103:104], v[78:79], s[0:1], -v[119:120]
	v_mul_f64 v[113:114], v[80:81], s[38:39]
	v_mul_f64 v[121:122], v[74:75], s[38:39]
	s_mov_b32 s43, 0x3fcea1e5
	s_mov_b32 s42, s22
	v_add_f64 v[22:23], v[93:94], v[22:23]
	v_add_f64 v[24:25], v[101:102], v[27:28]
	;; [unrolled: 1-line block ×6, first 2 shown]
	v_fma_f64 v[37:38], v[68:69], s[6:7], v[113:114]
	v_fma_f64 v[39:40], v[70:71], s[6:7], -v[121:122]
	v_fma_f64 v[83:84], v[45:46], s[18:19], -v[89:90]
	v_fma_f64 v[89:90], v[47:48], s[18:19], v[91:92]
	v_mul_f64 v[91:92], v[72:73], s[42:43]
	v_mul_f64 v[93:94], v[66:67], s[42:43]
	s_mov_b32 s37, 0x3fea55e2
	s_mov_b32 s36, s34
	v_add_f64 v[30:31], v[37:38], v[30:31]
	v_add_f64 v[32:33], v[39:40], v[32:33]
	;; [unrolled: 1-line block ×4, first 2 shown]
	v_fma_f64 v[83:84], v[76:77], s[0:1], -v[117:118]
	v_fma_f64 v[85:86], v[78:79], s[0:1], v[119:120]
	v_fma_f64 v[89:90], v[62:63], s[20:21], v[91:92]
	v_fma_f64 v[95:96], v[64:65], s[20:21], -v[93:94]
	v_mul_f64 v[117:118], v[51:52], s[34:35]
	v_mul_f64 v[101:102], v[60:61], s[36:37]
	;; [unrolled: 1-line block ×4, first 2 shown]
	v_add_f64 v[37:38], v[83:84], v[37:38]
	v_add_f64 v[39:40], v[85:86], v[39:40]
	v_fma_f64 v[83:84], v[68:69], s[6:7], -v[113:114]
	v_fma_f64 v[85:86], v[70:71], s[6:7], v[121:122]
	v_add_f64 v[30:31], v[89:90], v[30:31]
	v_add_f64 v[32:33], v[95:96], v[32:33]
	v_mul_f64 v[89:90], v[43:44], s[28:29]
	v_mul_f64 v[95:96], v[41:42], s[28:29]
	v_fma_f64 v[105:106], v[56:57], s[4:5], v[101:102]
	v_fma_f64 v[113:114], v[54:55], s[4:5], -v[103:104]
	v_add_f64 v[37:38], v[83:84], v[37:38]
	v_add_f64 v[39:40], v[85:86], v[39:40]
	v_fma_f64 v[83:84], v[62:63], s[20:21], -v[91:92]
	v_fma_f64 v[85:86], v[64:65], s[20:21], v[93:94]
	v_fma_f64 v[91:92], v[45:46], s[6:7], v[89:90]
	v_fma_f64 v[93:94], v[47:48], s[6:7], -v[95:96]
	v_fma_f64 v[89:90], v[45:46], s[6:7], -v[89:90]
	v_fma_f64 v[95:96], v[47:48], s[6:7], v[95:96]
	v_fma_f64 v[101:102], v[56:57], s[4:5], -v[101:102]
	v_fma_f64 v[103:104], v[54:55], s[4:5], v[103:104]
	v_add_f64 v[37:38], v[83:84], v[37:38]
	v_add_f64 v[39:40], v[85:86], v[39:40]
	v_add_f64 v[34:35], v[91:92], v[35:36]
	v_add_f64 v[83:84], v[93:94], v[97:98]
	v_fma_f64 v[85:86], v[76:77], s[4:5], v[117:118]
	v_mul_f64 v[93:94], v[80:81], s[42:43]
	v_add_f64 v[89:90], v[89:90], v[111:112]
	v_add_f64 v[87:88], v[95:96], v[87:88]
	v_fma_f64 v[95:96], v[76:77], s[4:5], -v[117:118]
	v_fma_f64 v[91:92], v[78:79], s[4:5], -v[119:120]
	v_mul_f64 v[97:98], v[74:75], s[42:43]
	v_fma_f64 v[111:112], v[78:79], s[4:5], v[119:120]
	v_add_f64 v[34:35], v[85:86], v[34:35]
	v_fma_f64 v[85:86], v[68:69], s[20:21], v[93:94]
	v_add_f64 v[30:31], v[105:106], v[30:31]
	v_mul_f64 v[105:106], v[72:73], s[30:31]
	v_add_f64 v[32:33], v[113:114], v[32:33]
	v_add_f64 v[83:84], v[91:92], v[83:84]
	v_fma_f64 v[91:92], v[70:71], s[20:21], -v[97:98]
	v_mul_f64 v[113:114], v[66:67], s[30:31]
	v_add_f64 v[87:88], v[111:112], v[87:88]
	v_add_f64 v[85:86], v[85:86], v[34:35]
	;; [unrolled: 1-line block ×5, first 2 shown]
	v_fma_f64 v[89:90], v[68:69], s[20:21], -v[93:94]
	v_fma_f64 v[93:94], v[70:71], s[20:21], v[97:98]
	v_mul_f64 v[43:44], v[43:44], s[30:31]
	v_mul_f64 v[40:41], v[41:42], s[30:31]
	v_add_f64 v[83:84], v[91:92], v[83:84]
	v_fma_f64 v[91:92], v[62:63], s[0:1], v[105:106]
	v_mul_f64 v[51:52], v[51:52], s[26:27]
	v_mul_f64 v[49:50], v[49:50], s[26:27]
	v_add_f64 v[38:39], v[89:90], v[38:39]
	v_fma_f64 v[89:90], v[62:63], s[0:1], -v[105:106]
	v_add_f64 v[87:88], v[93:94], v[87:88]
	v_fma_f64 v[93:94], v[64:65], s[0:1], v[113:114]
	v_fma_f64 v[103:104], v[45:46], s[0:1], v[43:44]
	v_fma_f64 v[105:106], v[47:48], s[0:1], -v[40:41]
	v_fma_f64 v[40:41], v[47:48], s[0:1], v[40:41]
	v_mul_f64 v[80:81], v[80:81], s[36:37]
	v_mul_f64 v[74:75], v[74:75], s[36:37]
	v_add_f64 v[89:90], v[89:90], v[38:39]
	v_fma_f64 v[38:39], v[45:46], s[0:1], -v[43:44]
	v_add_f64 v[87:88], v[93:94], v[87:88]
	v_add_f64 v[42:43], v[103:104], v[115:116]
	;; [unrolled: 1-line block ×3, first 2 shown]
	v_fma_f64 v[46:47], v[76:77], s[18:19], v[51:52]
	v_fma_f64 v[93:94], v[78:79], s[18:19], -v[49:50]
	v_add_f64 v[40:41], v[40:41], v[109:110]
	v_fma_f64 v[51:52], v[76:77], s[18:19], -v[51:52]
	v_add_f64 v[38:39], v[38:39], v[107:108]
	v_fma_f64 v[48:49], v[78:79], s[18:19], v[49:50]
	v_fma_f64 v[76:77], v[70:71], s[4:5], -v[74:75]
	v_mul_f64 v[72:73], v[72:73], s[24:25]
	v_add_f64 v[42:43], v[46:47], v[42:43]
	v_add_f64 v[44:45], v[93:94], v[44:45]
	v_fma_f64 v[46:47], v[68:69], s[4:5], v[80:81]
	v_mul_f64 v[66:67], v[66:67], s[24:25]
	v_add_f64 v[38:39], v[51:52], v[38:39]
	v_add_f64 v[40:41], v[48:49], v[40:41]
	v_fma_f64 v[48:49], v[68:69], s[4:5], -v[80:81]
	v_fma_f64 v[50:51], v[70:71], s[4:5], v[74:75]
	v_fma_f64 v[117:118], v[64:65], s[0:1], -v[113:114]
	v_add_f64 v[85:86], v[91:92], v[85:86]
	v_mul_f64 v[91:92], v[60:61], s[24:25]
	v_mul_f64 v[95:96], v[58:59], s[24:25]
	v_add_f64 v[42:43], v[46:47], v[42:43]
	v_add_f64 v[44:45], v[76:77], v[44:45]
	v_fma_f64 v[46:47], v[62:63], s[14:15], v[72:73]
	v_fma_f64 v[68:69], v[64:65], s[14:15], -v[66:67]
	v_mul_f64 v[60:61], v[60:61], s[28:29]
	v_mul_f64 v[58:59], v[58:59], s[28:29]
	v_add_f64 v[38:39], v[48:49], v[38:39]
	v_add_f64 v[40:41], v[50:51], v[40:41]
	v_fma_f64 v[48:49], v[62:63], s[14:15], -v[72:73]
	v_fma_f64 v[50:51], v[64:65], s[14:15], v[66:67]
	v_add_f64 v[83:84], v[117:118], v[83:84]
	v_fma_f64 v[97:98], v[56:57], s[14:15], v[91:92]
	v_fma_f64 v[101:102], v[54:55], s[14:15], -v[95:96]
	v_add_f64 v[46:47], v[46:47], v[42:43]
	v_add_f64 v[66:67], v[68:69], v[44:45]
	v_fma_f64 v[68:69], v[56:57], s[6:7], v[60:61]
	v_fma_f64 v[70:71], v[54:55], s[6:7], -v[58:59]
	v_fma_f64 v[62:63], v[56:57], s[14:15], -v[91:92]
	v_add_f64 v[72:73], v[48:49], v[38:39]
	v_add_f64 v[50:51], v[50:51], v[40:41]
	v_fma_f64 v[56:57], v[56:57], s[6:7], -v[60:61]
	v_fma_f64 v[58:59], v[54:55], s[6:7], v[58:59]
	v_fma_f64 v[64:65], v[54:55], s[14:15], v[95:96]
	v_add_f64 v[38:39], v[97:98], v[85:86]
	v_add_f64 v[40:41], v[101:102], v[83:84]
	s_movk_i32 s33, 0x9c0
	v_add_f64 v[46:47], v[68:69], v[46:47]
	v_add_f64 v[48:49], v[70:71], v[66:67]
	v_mad_u32_u24 v9, v82, s33, 0
	v_add_f64 v[54:55], v[56:57], v[72:73]
	v_add_f64 v[56:57], v[58:59], v[50:51]
	v_lshl_add_u32 v0, v255, 4, v9
	v_add_f64 v[42:43], v[62:63], v[89:90]
	v_add_f64 v[44:45], v[64:65], v[87:88]
	ds_write_b128 v0, v[5:8]
	ds_write_b128 v0, v[10:13] offset:192
	ds_write_b128 v0, v[14:17] offset:384
	ds_write_b128 v0, v[22:25] offset:576
	ds_write_b128 v0, v[30:33] offset:768
	ds_write_b128 v0, v[38:41] offset:960
	ds_write_b128 v0, v[46:49] offset:1152
	ds_write_b128 v0, v[54:57] offset:1344
	ds_write_b128 v0, v[42:45] offset:1536
	ds_write_b128 v0, v[34:37] offset:1728
	ds_write_b128 v0, v[26:29] offset:1920
	ds_write_b128 v0, v[18:21] offset:2112
	ds_write_b128 v0, v[1:4] offset:2304
	s_waitcnt lgkmcnt(0)
	s_barrier
	s_and_saveexec_b64 s[52:53], s[48:49]
	s_cbranch_execz .LBB0_16
; %bb.15:
	v_mul_i32_i24_e32 v0, 0xfffff700, v82
	v_lshlrev_b32_e32 v1, 4, v255
	v_add3_u32 v49, v9, v0, v1
	v_mul_lo_u16_e32 v0, 20, v82
	v_mov_b32_e32 v5, 13
	v_mul_lo_u16_sdwa v0, v0, v5 dst_sel:DWORD dst_unused:UNUSED_PAD src0_sel:BYTE_1 src1_sel:DWORD
	v_sub_u16_e32 v0, v82, v0
	v_and_b32_e32 v0, 0xff, v0
	v_mul_u32_u24_e32 v5, 12, v0
	v_lshlrev_b32_e32 v29, 4, v5
	ds_read_b128 v[1:4], v49 offset:14976
	global_load_dwordx4 v[5:8], v29, s[40:41] offset:112
	global_load_dwordx4 v[9:12], v29, s[40:41] offset:96
	;; [unrolled: 1-line block ×4, first 2 shown]
	v_mov_b32_e32 v245, 4
	v_mov_b32_e32 v244, 0x2000
	;; [unrolled: 1-line block ×3, first 2 shown]
	s_waitcnt vmcnt(1) lgkmcnt(0)
	v_mul_f64 v[21:22], v[3:4], v[15:16]
	v_fma_f64 v[30:31], v[1:2], v[13:14], v[21:22]
	ds_read_b128 v[21:24], v49 offset:17472
	v_mul_f64 v[1:2], v[1:2], v[15:16]
	s_waitcnt lgkmcnt(0)
	v_mul_f64 v[25:26], v[23:24], v[11:12]
	v_mov_b32_e32 v65, v31
	v_mov_b32_e32 v64, v30
	v_fma_f64 v[78:79], v[3:4], v[13:14], -v[1:2]
	v_mul_f64 v[1:2], v[21:22], v[11:12]
	buffer_store_dword v64, off, s[56:59], 0 offset:48 ; 4-byte Folded Spill
	s_nop 0
	buffer_store_dword v65, off, s[56:59], 0 offset:52 ; 4-byte Folded Spill
	v_fma_f64 v[27:28], v[21:22], v[9:10], v[25:26]
	v_fma_f64 v[80:81], v[23:24], v[9:10], -v[1:2]
	v_mov_b32_e32 v61, v28
	v_mov_b32_e32 v60, v27
	buffer_store_dword v60, off, s[56:59], 0 offset:40 ; 4-byte Folded Spill
	s_nop 0
	buffer_store_dword v61, off, s[56:59], 0 offset:44 ; 4-byte Folded Spill
	ds_read_b128 v[1:4], v49 offset:12480
	v_add_f64 v[25:26], v[30:31], -v[27:28]
	v_add_f64 v[51:52], v[78:79], v[80:81]
	s_waitcnt vmcnt(4) lgkmcnt(0)
	v_mul_f64 v[9:10], v[3:4], v[19:20]
	v_mul_f64 v[62:63], v[25:26], s[22:23]
	v_fma_f64 v[15:16], v[1:2], v[17:18], v[9:10]
	ds_read_b128 v[9:12], v49 offset:19968
	v_mul_f64 v[1:2], v[1:2], v[19:20]
	v_fma_f64 v[106:107], v[51:52], s[20:21], v[62:63]
	s_waitcnt lgkmcnt(0)
	v_mul_f64 v[13:14], v[11:12], v[7:8]
	v_mov_b32_e32 v111, v16
	v_mov_b32_e32 v110, v15
	v_fma_f64 v[84:85], v[3:4], v[17:18], -v[1:2]
	v_mul_f64 v[1:2], v[9:10], v[7:8]
	buffer_store_dword v110, off, s[56:59], 0 offset:56 ; 4-byte Folded Spill
	s_nop 0
	buffer_store_dword v111, off, s[56:59], 0 offset:60 ; 4-byte Folded Spill
	v_fma_f64 v[13:14], v[9:10], v[5:6], v[13:14]
	v_fma_f64 v[82:83], v[11:12], v[5:6], -v[1:2]
	v_mov_b32_e32 v59, v14
	v_mov_b32_e32 v58, v13
	buffer_store_dword v58, off, s[56:59], 0 offset:32 ; 4-byte Folded Spill
	s_nop 0
	buffer_store_dword v59, off, s[56:59], 0 offset:36 ; 4-byte Folded Spill
	v_add_f64 v[27:28], v[15:16], -v[13:14]
	ds_read_b128 v[1:4], v49 offset:9984
	global_load_dwordx4 v[5:8], v29, s[40:41] offset:48
	global_load_dwordx4 v[9:12], v29, s[40:41] offset:32
	;; [unrolled: 1-line block ×3, first 2 shown]
	global_load_dwordx4 v[17:20], v29, s[40:41]
	v_add_f64 v[104:105], v[84:85], v[82:83]
	v_mul_f64 v[102:103], v[27:28], s[26:27]
	v_fma_f64 v[108:109], v[104:105], s[18:19], v[102:103]
	v_add_f64 v[110:111], v[110:111], v[58:59]
	s_waitcnt vmcnt(3) lgkmcnt(0)
	v_mul_f64 v[21:22], v[3:4], v[7:8]
	v_fma_f64 v[70:71], v[1:2], v[5:6], v[21:22]
	ds_read_b128 v[21:24], v49 offset:22464
	global_load_dwordx4 v[37:40], v29, s[40:41] offset:176
	global_load_dwordx4 v[41:44], v29, s[40:41] offset:160
	;; [unrolled: 1-line block ×4, first 2 shown]
	v_mul_f64 v[1:2], v[1:2], v[7:8]
	v_fma_f64 v[88:89], v[3:4], v[5:6], -v[1:2]
	s_waitcnt vmcnt(0) lgkmcnt(0)
	v_mul_f64 v[1:2], v[21:22], v[47:48]
	v_mul_f64 v[29:30], v[23:24], v[47:48]
	v_fma_f64 v[86:87], v[23:24], v[45:46], -v[1:2]
	ds_read_b128 v[1:4], v49 offset:7488
	v_fma_f64 v[68:69], v[21:22], v[45:46], v[29:30]
	s_waitcnt lgkmcnt(0)
	v_mul_f64 v[5:6], v[3:4], v[11:12]
	v_add_f64 v[132:133], v[88:89], v[86:87]
	v_add_f64 v[186:187], v[88:89], -v[86:87]
	v_add_f64 v[29:30], v[70:71], -v[68:69]
	v_add_f64 v[114:115], v[70:71], v[68:69]
	v_fma_f64 v[72:73], v[1:2], v[9:10], v[5:6]
	ds_read_b128 v[5:8], v49 offset:24960
	v_mul_f64 v[1:2], v[1:2], v[11:12]
	v_mul_f64 v[116:117], v[186:187], s[24:25]
	v_mul_f64 v[130:131], v[29:30], s[24:25]
	v_mul_f64 v[146:147], v[29:30], s[44:45]
	s_waitcnt lgkmcnt(0)
	v_mul_f64 v[23:24], v[7:8], v[35:36]
	v_mul_f64 v[158:159], v[186:187], s[44:45]
	;; [unrolled: 1-line block ×3, first 2 shown]
	v_fma_f64 v[92:93], v[3:4], v[9:10], -v[1:2]
	v_mul_f64 v[1:2], v[5:6], v[35:36]
	v_fma_f64 v[21:22], v[132:133], s[14:15], v[130:131]
	v_fma_f64 v[23:24], v[5:6], v[33:34], v[23:24]
	v_fma_f64 v[198:199], v[114:115], s[0:1], -v[178:179]
	v_fma_f64 v[90:91], v[7:8], v[33:34], -v[1:2]
	v_mov_b32_e32 v48, v24
	v_mov_b32_e32 v47, v23
	buffer_store_dword v47, off, s[56:59], 0 offset:24 ; 4-byte Folded Spill
	s_nop 0
	buffer_store_dword v48, off, s[56:59], 0 offset:28 ; 4-byte Folded Spill
	ds_read_b128 v[1:4], v49 offset:4992
	v_add_f64 v[31:32], v[72:73], -v[23:24]
	v_add_f64 v[136:137], v[92:93], v[90:91]
	v_add_f64 v[188:189], v[92:93], -v[90:91]
	s_waitcnt lgkmcnt(0)
	v_mul_f64 v[5:6], v[3:4], v[15:16]
	v_mul_f64 v[134:135], v[31:32], s[38:39]
	;; [unrolled: 1-line block ×5, first 2 shown]
	v_fma_f64 v[74:75], v[1:2], v[13:14], v[5:6]
	ds_read_b128 v[5:8], v49 offset:27456
	v_mul_f64 v[1:2], v[1:2], v[15:16]
	v_mul_f64 v[180:181], v[188:189], s[46:47]
	v_fma_f64 v[23:24], v[136:137], s[6:7], v[134:135]
	v_mul_f64 v[212:213], v[188:189], s[30:31]
	s_waitcnt lgkmcnt(0)
	v_mul_f64 v[9:10], v[7:8], v[43:44]
	v_fma_f64 v[96:97], v[3:4], v[13:14], -v[1:2]
	v_mul_f64 v[1:2], v[5:6], v[43:44]
	v_fma_f64 v[9:10], v[5:6], v[41:42], v[9:10]
	v_fma_f64 v[94:95], v[7:8], v[41:42], -v[1:2]
	v_mov_b32_e32 v46, v10
	v_mov_b32_e32 v45, v9
	buffer_store_dword v45, off, s[56:59], 0 offset:16 ; 4-byte Folded Spill
	s_nop 0
	buffer_store_dword v46, off, s[56:59], 0 offset:20 ; 4-byte Folded Spill
	v_add_f64 v[33:34], v[74:75], -v[9:10]
	ds_read_b128 v[9:12], v49
	ds_read_b128 v[1:4], v49 offset:2496
	v_add_f64 v[140:141], v[96:97], v[94:95]
	v_add_f64 v[190:191], v[96:97], -v[94:95]
	s_waitcnt lgkmcnt(0)
	v_mul_f64 v[5:6], v[3:4], v[19:20]
	v_mul_f64 v[56:57], v[33:34], s[34:35]
	;; [unrolled: 1-line block ×7, first 2 shown]
	v_fma_f64 v[76:77], v[1:2], v[17:18], v[5:6]
	ds_read_b128 v[5:8], v49 offset:29952
	v_mul_f64 v[1:2], v[1:2], v[19:20]
	v_fma_f64 v[13:14], v[140:141], s[4:5], v[56:57]
	v_mul_f64 v[240:241], v[190:191], s[28:29]
	v_fma_f64 v[56:57], v[140:141], s[4:5], -v[56:57]
	s_waitcnt lgkmcnt(0)
	v_mul_f64 v[15:16], v[7:8], v[39:40]
	v_fma_f64 v[100:101], v[3:4], v[17:18], -v[1:2]
	v_mul_f64 v[1:2], v[5:6], v[39:40]
	v_add_f64 v[39:40], v[84:85], -v[82:83]
	v_fma_f64 v[66:67], v[5:6], v[37:38], v[15:16]
	v_fma_f64 v[98:99], v[7:8], v[37:38], -v[1:2]
	v_add_f64 v[37:38], v[78:79], -v[80:81]
	v_mul_f64 v[112:113], v[39:40], s[26:27]
	v_add_f64 v[35:36], v[76:77], -v[66:67]
	v_add_f64 v[126:127], v[76:77], v[66:67]
	v_mul_f64 v[176:177], v[39:40], s[34:35]
	v_add_f64 v[118:119], v[72:73], v[47:48]
	v_add_f64 v[144:145], v[100:101], v[98:99]
	v_add_f64 v[192:193], v[100:101], -v[98:99]
	v_mul_f64 v[47:48], v[27:28], s[28:29]
	v_mul_f64 v[54:55], v[35:36], s[50:51]
	;; [unrolled: 1-line block ×5, first 2 shown]
	v_fma_f64 v[200:201], v[118:119], s[14:15], -v[180:181]
	v_fma_f64 v[228:229], v[118:119], s[0:1], -v[212:213]
	v_mul_f64 v[58:59], v[192:193], s[50:51]
	v_mul_f64 v[164:165], v[192:193], s[34:35]
	v_fma_f64 v[1:2], v[144:145], s[0:1], v[54:55]
	v_mul_f64 v[184:185], v[192:193], s[38:39]
	v_mul_f64 v[216:217], v[192:193], s[24:25]
	v_fma_f64 v[54:55], v[144:145], s[0:1], -v[54:55]
	v_fma_f64 v[43:44], v[126:127], s[0:1], -v[58:59]
	;; [unrolled: 1-line block ×3, first 2 shown]
	v_add_f64 v[1:2], v[11:12], v[1:2]
	v_fma_f64 v[204:205], v[126:127], s[6:7], -v[184:185]
	v_fma_f64 v[232:233], v[126:127], s[14:15], -v[216:217]
	v_add_f64 v[54:55], v[11:12], v[54:55]
	v_fma_f64 v[58:59], v[126:127], s[0:1], v[58:59]
	v_add_f64 v[43:44], v[9:10], v[43:44]
	v_add_f64 v[168:169], v[9:10], v[168:169]
	;; [unrolled: 1-line block ×7, first 2 shown]
	v_fma_f64 v[56:57], v[110:111], s[18:19], v[112:113]
	v_add_f64 v[1:2], v[23:24], v[1:2]
	v_fma_f64 v[23:24], v[118:119], s[6:7], -v[120:121]
	v_add_f64 v[122:123], v[74:75], v[45:46]
	v_mul_f64 v[45:46], v[25:26], s[30:31]
	v_add_f64 v[1:2], v[21:22], v[1:2]
	v_fma_f64 v[21:22], v[114:115], s[14:15], -v[116:117]
	v_fma_f64 v[166:167], v[122:123], s[14:15], -v[162:163]
	v_fma_f64 v[202:203], v[122:123], s[20:21], -v[182:183]
	v_fma_f64 v[230:231], v[122:123], s[18:19], -v[214:215]
	v_fma_f64 v[142:143], v[122:123], s[6:7], -v[240:241]
	v_add_f64 v[1:2], v[108:109], v[1:2]
	v_mul_f64 v[108:109], v[37:38], s[22:23]
	v_add_f64 v[166:167], v[166:167], v[168:169]
	v_mul_f64 v[168:169], v[31:32], s[46:47]
	;; [unrolled: 2-line block ×3, first 2 shown]
	v_add_f64 v[230:231], v[230:231], v[232:233]
	v_add_f64 v[17:18], v[106:107], v[1:2]
	v_add_u32_e32 v1, 0x9c, v0
	v_mul_lo_u32 v13, v53, v1
	v_add_f64 v[106:107], v[64:65], v[60:61]
	v_mul_f64 v[60:61], v[190:191], s[34:35]
	v_add_f64 v[200:201], v[200:201], v[202:203]
	v_bfe_u32 v1, v13, 16, 8
	v_lshlrev_b32_sdwa v5, v245, v13 dst_sel:DWORD dst_unused:UNUSED_PAD src0_sel:DWORD src1_sel:BYTE_0
	v_bfe_u32 v13, v13, 8, 8
	v_lshl_or_b32 v1, v1, 4, v244
	v_lshl_or_b32 v13, v13, 4, v246
	global_load_dwordx4 v[1:4], v1, s[12:13]
	v_fma_f64 v[41:42], v[122:123], s[4:5], -v[60:61]
	global_load_dwordx4 v[5:8], v5, s[12:13]
	v_add_f64 v[198:199], v[198:199], v[200:201]
	global_load_dwordx4 v[13:16], v13, s[12:13]
	v_mul_f64 v[202:203], v[33:34], s[44:45]
	v_fma_f64 v[208:209], v[144:145], s[14:15], v[204:205]
	v_mul_f64 v[200:201], v[31:32], s[30:31]
	v_add_f64 v[228:229], v[228:229], v[230:231]
	v_add_f64 v[41:42], v[41:42], v[43:44]
	v_fma_f64 v[43:44], v[118:119], s[20:21], -v[160:161]
	v_mul_f64 v[230:231], v[35:36], s[26:27]
	v_mul_f64 v[190:191], v[190:191], s[30:31]
	v_fma_f64 v[206:207], v[140:141], s[18:19], v[202:203]
	v_add_f64 v[208:209], v[11:12], v[208:209]
	v_fma_f64 v[60:61], v[122:123], s[4:5], v[60:61]
	v_add_f64 v[23:24], v[23:24], v[41:42]
	v_fma_f64 v[41:42], v[114:115], s[18:19], -v[158:159]
	v_add_f64 v[43:44], v[43:44], v[166:167]
	v_mul_f64 v[166:167], v[29:30], s[30:31]
	v_fma_f64 v[236:237], v[144:145], s[18:19], v[230:231]
	v_add_f64 v[206:207], v[206:207], v[208:209]
	v_fma_f64 v[154:155], v[122:123], s[0:1], -v[190:191]
	v_add_f64 v[58:59], v[60:61], v[58:59]
	v_add_f64 v[21:22], v[21:22], v[23:24]
	;; [unrolled: 1-line block ×3, first 2 shown]
	v_mul_f64 v[43:44], v[27:28], s[34:35]
	v_add_f64 v[236:237], v[11:12], v[236:237]
	s_waitcnt vmcnt(0)
	v_mul_f64 v[19:20], v[7:8], v[15:16]
	v_fma_f64 v[19:20], v[5:6], v[13:14], -v[19:20]
	v_mul_f64 v[5:6], v[5:6], v[15:16]
	v_fma_f64 v[15:16], v[110:111], s[18:19], -v[112:113]
	v_fma_f64 v[5:6], v[7:8], v[13:14], v[5:6]
	v_fma_f64 v[13:14], v[106:107], s[20:21], -v[108:109]
	v_add_f64 v[15:16], v[15:16], v[21:22]
	v_mul_f64 v[7:8], v[5:6], v[3:4]
	v_mul_f64 v[3:4], v[19:20], v[3:4]
	v_add_f64 v[13:14], v[13:14], v[15:16]
	v_fma_f64 v[15:16], v[136:137], s[20:21], v[148:149]
	v_fma_f64 v[7:8], v[1:2], v[19:20], -v[7:8]
	v_fma_f64 v[1:2], v[1:2], v[5:6], v[3:4]
	v_fma_f64 v[19:20], v[144:145], s[4:5], v[152:153]
	;; [unrolled: 1-line block ×3, first 2 shown]
	v_mul_f64 v[3:4], v[13:14], v[1:2]
	v_mul_f64 v[1:2], v[17:18], v[1:2]
	v_add_f64 v[19:20], v[11:12], v[19:20]
	v_fma_f64 v[3:4], v[17:18], v[7:8], -v[3:4]
	v_fma_f64 v[17:18], v[140:141], s[14:15], v[150:151]
	v_fma_f64 v[1:2], v[13:14], v[7:8], v[1:2]
	;; [unrolled: 1-line block ×4, first 2 shown]
	buffer_store_dword v1, off, s[56:59], 0 ; 4-byte Folded Spill
	s_nop 0
	buffer_store_dword v2, off, s[56:59], 0 offset:4 ; 4-byte Folded Spill
	buffer_store_dword v3, off, s[56:59], 0 offset:8 ; 4-byte Folded Spill
	;; [unrolled: 1-line block ×3, first 2 shown]
	v_add_f64 v[17:18], v[17:18], v[19:20]
	v_add_u32_e32 v1, 0x8f, v0
	v_mul_lo_u32 v1, v53, v1
	v_add_u32_e32 v3, 0x82, v0
	v_mul_lo_u32 v3, v53, v3
	v_bfe_u32 v2, v1, 16, 8
	v_lshl_or_b32 v2, v2, 4, v244
	v_add_f64 v[15:16], v[15:16], v[17:18]
	v_bfe_u32 v4, v3, 16, 8
	v_lshl_or_b32 v4, v4, 4, v244
	v_add_f64 v[13:14], v[13:14], v[15:16]
	v_add_f64 v[7:8], v[7:8], v[13:14]
	;; [unrolled: 1-line block ×3, first 2 shown]
	global_load_dwordx4 v[5:8], v2, s[12:13]
	v_lshlrev_b32_sdwa v2, v245, v1 dst_sel:DWORD dst_unused:UNUSED_PAD src0_sel:DWORD src1_sel:BYTE_0
	v_bfe_u32 v1, v1, 8, 8
	v_lshl_or_b32 v1, v1, 4, v246
	global_load_dwordx4 v[13:16], v2, s[12:13]
	global_load_dwordx4 v[17:20], v1, s[12:13]
	v_mul_f64 v[1:2], v[39:40], s[28:29]
	s_waitcnt vmcnt(0)
	v_mul_f64 v[23:24], v[15:16], v[19:20]
	v_fma_f64 v[23:24], v[13:14], v[17:18], -v[23:24]
	v_mul_f64 v[13:14], v[13:14], v[19:20]
	v_fma_f64 v[19:20], v[110:111], s[6:7], -v[1:2]
	v_fma_f64 v[1:2], v[110:111], s[6:7], v[1:2]
	v_fma_f64 v[13:14], v[15:16], v[17:18], v[13:14]
	v_fma_f64 v[17:18], v[106:107], s[0:1], -v[49:50]
	v_add_f64 v[19:20], v[19:20], v[41:42]
	v_mul_f64 v[41:42], v[25:26], s[26:27]
	v_fma_f64 v[49:50], v[106:107], s[0:1], v[49:50]
	v_mul_f64 v[15:16], v[13:14], v[7:8]
	v_mul_f64 v[7:8], v[23:24], v[7:8]
	v_add_f64 v[17:18], v[17:18], v[19:20]
	v_fma_f64 v[19:20], v[136:137], s[14:15], v[168:169]
	v_fma_f64 v[15:16], v[5:6], v[23:24], -v[15:16]
	v_fma_f64 v[5:6], v[5:6], v[13:14], v[7:8]
	v_fma_f64 v[23:24], v[144:145], s[6:7], v[172:173]
	;; [unrolled: 1-line block ×3, first 2 shown]
	v_mul_f64 v[7:8], v[17:18], v[5:6]
	v_mul_f64 v[5:6], v[21:22], v[5:6]
	v_add_f64 v[23:24], v[11:12], v[23:24]
	v_fma_f64 v[7:8], v[21:22], v[15:16], -v[7:8]
	v_fma_f64 v[21:22], v[140:141], s[20:21], v[170:171]
	v_fma_f64 v[5:6], v[17:18], v[15:16], v[5:6]
	;; [unrolled: 1-line block ×4, first 2 shown]
	v_add_f64 v[21:22], v[21:22], v[23:24]
	v_add_f64 v[19:20], v[19:20], v[21:22]
	;; [unrolled: 1-line block ×5, first 2 shown]
	global_load_dwordx4 v[13:16], v4, s[12:13]
	v_lshlrev_b32_sdwa v4, v245, v3 dst_sel:DWORD dst_unused:UNUSED_PAD src0_sel:DWORD src1_sel:BYTE_0
	v_bfe_u32 v3, v3, 8, 8
	v_lshl_or_b32 v3, v3, 4, v246
	global_load_dwordx4 v[17:20], v4, s[12:13]
	global_load_dwordx4 v[21:24], v3, s[12:13]
	v_add_u32_e32 v3, 0x75, v0
	v_mul_lo_u32 v3, v53, v3
	v_bfe_u32 v4, v3, 16, 8
	v_lshl_or_b32 v4, v4, 4, v244
	s_waitcnt vmcnt(0)
	v_mul_f64 v[174:175], v[19:20], v[23:24]
	v_fma_f64 v[196:197], v[17:18], v[21:22], -v[174:175]
	v_mul_f64 v[17:18], v[17:18], v[23:24]
	v_mul_f64 v[174:175], v[37:38], s[26:27]
	v_fma_f64 v[23:24], v[110:111], s[4:5], -v[176:177]
	v_fma_f64 v[17:18], v[19:20], v[21:22], v[17:18]
	v_fma_f64 v[21:22], v[106:107], s[18:19], -v[174:175]
	v_add_f64 v[23:24], v[23:24], v[198:199]
	v_mul_f64 v[198:199], v[29:30], s[38:39]
	v_mul_f64 v[19:20], v[17:18], v[15:16]
	;; [unrolled: 1-line block ×3, first 2 shown]
	v_add_f64 v[21:22], v[21:22], v[23:24]
	v_fma_f64 v[23:24], v[136:137], s[0:1], v[200:201]
	v_fma_f64 v[19:20], v[13:14], v[196:197], -v[19:20]
	v_fma_f64 v[13:14], v[13:14], v[17:18], v[15:16]
	v_mul_f64 v[196:197], v[27:28], s[42:43]
	v_add_f64 v[23:24], v[23:24], v[206:207]
	v_mul_f64 v[15:16], v[21:22], v[13:14]
	v_mul_f64 v[13:14], v[194:195], v[13:14]
	v_fma_f64 v[15:16], v[194:195], v[19:20], -v[15:16]
	v_fma_f64 v[13:14], v[21:22], v[19:20], v[13:14]
	v_fma_f64 v[21:22], v[132:133], s[6:7], v[198:199]
	v_mul_f64 v[194:195], v[25:26], s[36:37]
	v_fma_f64 v[19:20], v[104:105], s[20:21], v[196:197]
	v_add_f64 v[21:22], v[21:22], v[23:24]
	v_fma_f64 v[17:18], v[51:52], s[4:5], v[194:195]
	v_add_f64 v[19:20], v[19:20], v[21:22]
	v_add_f64 v[218:219], v[17:18], v[19:20]
	global_load_dwordx4 v[17:20], v4, s[12:13]
	v_lshlrev_b32_sdwa v4, v245, v3 dst_sel:DWORD dst_unused:UNUSED_PAD src0_sel:DWORD src1_sel:BYTE_0
	v_bfe_u32 v3, v3, 8, 8
	v_lshl_or_b32 v3, v3, 4, v246
	global_load_dwordx4 v[21:24], v4, s[12:13]
	global_load_dwordx4 v[206:209], v3, s[12:13]
	v_add_u32_e32 v3, 0x68, v0
	v_mul_lo_u32 v3, v53, v3
	v_bfe_u32 v4, v3, 16, 8
	v_lshl_or_b32 v4, v4, 4, v244
	s_waitcnt vmcnt(0)
	v_mul_f64 v[210:211], v[23:24], v[208:209]
	v_fma_f64 v[220:221], v[21:22], v[206:207], -v[210:211]
	v_mul_f64 v[210:211], v[186:187], s[38:39]
	v_mul_f64 v[21:22], v[21:22], v[208:209]
	;; [unrolled: 1-line block ×3, first 2 shown]
	v_fma_f64 v[226:227], v[114:115], s[6:7], -v[210:211]
	v_fma_f64 v[21:22], v[23:24], v[206:207], v[21:22]
	v_mul_f64 v[206:207], v[37:38], s[36:37]
	v_fma_f64 v[224:225], v[110:111], s[20:21], -v[208:209]
	v_add_f64 v[226:227], v[226:227], v[228:229]
	v_mul_f64 v[23:24], v[21:22], v[19:20]
	v_fma_f64 v[222:223], v[106:107], s[4:5], -v[206:207]
	v_mul_f64 v[19:20], v[220:221], v[19:20]
	v_mul_f64 v[228:229], v[33:34], s[28:29]
	v_add_f64 v[224:225], v[224:225], v[226:227]
	v_fma_f64 v[23:24], v[17:18], v[220:221], -v[23:24]
	v_mul_f64 v[226:227], v[31:32], s[34:35]
	v_fma_f64 v[17:18], v[17:18], v[21:22], v[19:20]
	v_fma_f64 v[234:235], v[140:141], s[6:7], v[228:229]
	v_mul_f64 v[220:221], v[25:26], s[24:25]
	v_add_f64 v[222:223], v[222:223], v[224:225]
	v_mul_f64 v[224:225], v[29:30], s[42:43]
	v_fma_f64 v[232:233], v[136:137], s[4:5], v[226:227]
	v_add_f64 v[234:235], v[234:235], v[236:237]
	v_fma_f64 v[21:22], v[51:52], s[14:15], v[220:221]
	v_mul_f64 v[19:20], v[222:223], v[17:18]
	v_mul_f64 v[17:18], v[218:219], v[17:18]
	v_add_f64 v[232:233], v[232:233], v[234:235]
	v_fma_f64 v[19:20], v[218:219], v[23:24], -v[19:20]
	v_fma_f64 v[17:18], v[222:223], v[23:24], v[17:18]
	v_mul_f64 v[222:223], v[27:28], s[30:31]
	v_fma_f64 v[218:219], v[132:133], s[20:21], v[224:225]
	v_fma_f64 v[23:24], v[104:105], s[0:1], v[222:223]
	v_add_f64 v[218:219], v[218:219], v[232:233]
	v_add_f64 v[23:24], v[23:24], v[218:219]
	;; [unrolled: 1-line block ×3, first 2 shown]
	global_load_dwordx4 v[21:24], v4, s[12:13]
	v_lshlrev_b32_sdwa v4, v245, v3 dst_sel:DWORD dst_unused:UNUSED_PAD src0_sel:DWORD src1_sel:BYTE_0
	v_bfe_u32 v3, v3, 8, 8
	v_lshl_or_b32 v3, v3, 4, v246
	global_load_dwordx4 v[232:235], v4, s[12:13]
	global_load_dwordx4 v[236:239], v3, s[12:13]
	s_waitcnt vmcnt(0)
	v_mul_f64 v[218:219], v[234:235], v[238:239]
	v_fma_f64 v[249:250], v[232:233], v[236:237], -v[218:219]
	v_mul_f64 v[218:219], v[232:233], v[238:239]
	v_mul_f64 v[238:239], v[188:189], s[34:35]
	;; [unrolled: 1-line block ×4, first 2 shown]
	v_fma_f64 v[251:252], v[234:235], v[236:237], v[218:219]
	v_mul_f64 v[236:237], v[186:187], s[42:43]
	v_fma_f64 v[138:139], v[118:119], s[4:5], -v[238:239]
	v_mul_f64 v[234:235], v[39:40], s[30:31]
	v_fma_f64 v[242:243], v[106:107], s[14:15], -v[232:233]
	v_mul_f64 v[186:187], v[186:187], s[36:37]
	v_mul_f64 v[218:219], v[251:252], v[23:24]
	v_fma_f64 v[128:129], v[114:115], s[20:21], -v[236:237]
	v_mul_f64 v[23:24], v[249:250], v[23:24]
	v_fma_f64 v[124:125], v[110:111], s[0:1], -v[234:235]
	v_fma_f64 v[253:254], v[21:22], v[249:250], -v[218:219]
	v_mul_f64 v[218:219], v[192:193], s[26:27]
	v_fma_f64 v[21:22], v[21:22], v[251:252], v[23:24]
	v_mul_f64 v[192:193], v[192:193], s[22:23]
	v_mul_f64 v[251:252], v[37:38], s[28:29]
	v_fma_f64 v[37:38], v[114:115], s[4:5], -v[186:187]
	v_fma_f64 v[3:4], v[126:127], s[18:19], -v[218:219]
	;; [unrolled: 1-line block ×3, first 2 shown]
	v_add_f64 v[3:4], v[9:10], v[3:4]
	v_add_f64 v[64:65], v[9:10], v[64:65]
	v_add_f64 v[3:4], v[142:143], v[3:4]
	v_mul_f64 v[142:143], v[33:34], s[30:31]
	v_add_f64 v[64:65], v[154:155], v[64:65]
	v_fma_f64 v[154:155], v[122:123], s[6:7], v[240:241]
	v_add_f64 v[3:4], v[138:139], v[3:4]
	v_mul_f64 v[138:139], v[31:32], s[26:27]
	v_fma_f64 v[33:34], v[140:141], s[0:1], v[142:143]
	v_add_f64 v[3:4], v[128:129], v[3:4]
	v_mul_f64 v[128:129], v[29:30], s[36:37]
	;; [unrolled: 3-line block ×4, first 2 shown]
	v_fma_f64 v[27:28], v[104:105], s[14:15], v[124:125]
	v_mul_f64 v[23:24], v[3:4], v[21:22]
	v_fma_f64 v[35:36], v[144:145], s[20:21], v[242:243]
	v_mul_f64 v[21:22], v[247:248], v[21:22]
	v_fma_f64 v[23:24], v[247:248], v[253:254], -v[23:24]
	v_add_f64 v[35:36], v[11:12], v[35:36]
	v_fma_f64 v[21:22], v[3:4], v[253:254], v[21:22]
	v_mul_f64 v[3:4], v[25:26], s[28:29]
	v_mul_f64 v[253:254], v[39:40], s[24:25]
	v_fma_f64 v[39:40], v[118:119], s[18:19], -v[188:189]
	v_add_f64 v[33:34], v[33:34], v[35:36]
	v_fma_f64 v[25:26], v[51:52], s[6:7], v[3:4]
	v_fma_f64 v[3:4], v[51:52], s[6:7], -v[3:4]
	v_add_f64 v[39:40], v[39:40], v[64:65]
	v_add_f64 v[31:32], v[31:32], v[33:34]
	;; [unrolled: 1-line block ×6, first 2 shown]
	v_add_u32_e32 v25, 0x5b, v0
	v_mul_lo_u32 v33, v53, v25
	v_bfe_u32 v25, v33, 16, 8
	v_lshlrev_b32_sdwa v29, v245, v33 dst_sel:DWORD dst_unused:UNUSED_PAD src0_sel:DWORD src1_sel:BYTE_0
	v_bfe_u32 v33, v33, 8, 8
	v_lshl_or_b32 v25, v25, 4, v244
	v_lshl_or_b32 v33, v33, 4, v246
	global_load_dwordx4 v[25:28], v25, s[12:13]
	s_nop 0
	global_load_dwordx4 v[29:32], v29, s[12:13]
	s_nop 0
	global_load_dwordx4 v[33:36], v33, s[12:13]
	s_waitcnt vmcnt(0)
	v_mul_f64 v[249:250], v[31:32], v[35:36]
	v_fma_f64 v[249:250], v[29:30], v[33:34], -v[249:250]
	v_mul_f64 v[29:30], v[29:30], v[35:36]
	v_fma_f64 v[35:36], v[110:111], s[14:15], -v[253:254]
	v_fma_f64 v[29:30], v[31:32], v[33:34], v[29:30]
	v_fma_f64 v[33:34], v[106:107], s[6:7], -v[251:252]
	v_add_f64 v[35:36], v[35:36], v[37:38]
	v_fma_f64 v[37:38], v[144:145], s[20:21], -v[242:243]
	v_mul_f64 v[31:32], v[29:30], v[27:28]
	v_mul_f64 v[27:28], v[249:250], v[27:28]
	v_add_f64 v[33:34], v[33:34], v[35:36]
	v_fma_f64 v[35:36], v[140:141], s[0:1], -v[142:143]
	v_add_f64 v[37:38], v[11:12], v[37:38]
	v_fma_f64 v[142:143], v[126:127], s[20:21], v[192:193]
	v_fma_f64 v[31:32], v[25:26], v[249:250], -v[31:32]
	v_fma_f64 v[25:26], v[25:26], v[29:30], v[27:28]
	v_fma_f64 v[29:30], v[104:105], s[14:15], -v[124:125]
	v_fma_f64 v[124:125], v[114:115], s[4:5], v[186:187]
	v_add_f64 v[35:36], v[35:36], v[37:38]
	v_add_f64 v[142:143], v[9:10], v[142:143]
	v_mul_f64 v[27:28], v[33:34], v[25:26]
	v_mul_f64 v[25:26], v[247:248], v[25:26]
	v_fma_f64 v[27:28], v[247:248], v[31:32], -v[27:28]
	v_fma_f64 v[25:26], v[33:34], v[31:32], v[25:26]
	v_fma_f64 v[33:34], v[136:137], s[18:19], -v[138:139]
	v_fma_f64 v[31:32], v[132:133], s[4:5], -v[128:129]
	v_fma_f64 v[138:139], v[122:123], s[0:1], v[190:191]
	v_fma_f64 v[128:129], v[118:119], s[18:19], v[188:189]
	v_add_f64 v[33:34], v[33:34], v[35:36]
	v_add_f64 v[138:139], v[138:139], v[142:143]
	v_fma_f64 v[142:143], v[118:119], s[4:5], v[238:239]
	v_add_f64 v[31:32], v[31:32], v[33:34]
	v_add_f64 v[128:129], v[128:129], v[138:139]
	;; [unrolled: 3-line block ×3, first 2 shown]
	v_fma_f64 v[128:129], v[110:111], s[0:1], v[234:235]
	v_add_f64 v[3:4], v[3:4], v[29:30]
	v_add_u32_e32 v29, 0x4e, v0
	v_mul_lo_u32 v37, v53, v29
	v_bfe_u32 v29, v37, 16, 8
	v_lshlrev_b32_sdwa v33, v245, v37 dst_sel:DWORD dst_unused:UNUSED_PAD src0_sel:DWORD src1_sel:BYTE_0
	v_bfe_u32 v37, v37, 8, 8
	v_lshl_or_b32 v29, v29, 4, v244
	v_lshl_or_b32 v37, v37, 4, v246
	global_load_dwordx4 v[29:32], v29, s[12:13]
	s_nop 0
	global_load_dwordx4 v[33:36], v33, s[12:13]
	s_nop 0
	global_load_dwordx4 v[37:40], v37, s[12:13]
	s_waitcnt vmcnt(0)
	v_mul_f64 v[64:65], v[35:36], v[39:40]
	v_fma_f64 v[64:65], v[33:34], v[37:38], -v[64:65]
	v_mul_f64 v[33:34], v[33:34], v[39:40]
	v_fma_f64 v[39:40], v[110:111], s[14:15], v[253:254]
	v_fma_f64 v[33:34], v[35:36], v[37:38], v[33:34]
	;; [unrolled: 1-line block ×3, first 2 shown]
	v_add_f64 v[39:40], v[39:40], v[124:125]
	v_fma_f64 v[124:125], v[106:107], s[14:15], v[232:233]
	v_mul_f64 v[35:36], v[33:34], v[31:32]
	v_mul_f64 v[31:32], v[64:65], v[31:32]
	v_add_f64 v[37:38], v[37:38], v[39:40]
	v_fma_f64 v[39:40], v[140:141], s[6:7], -v[228:229]
	v_fma_f64 v[35:36], v[29:30], v[64:65], -v[35:36]
	v_fma_f64 v[29:30], v[29:30], v[33:34], v[31:32]
	v_fma_f64 v[64:65], v[144:145], s[18:19], -v[230:231]
	v_fma_f64 v[33:34], v[104:105], s[0:1], -v[222:223]
	v_mul_f64 v[31:32], v[37:38], v[29:30]
	v_add_f64 v[64:65], v[11:12], v[64:65]
	v_fma_f64 v[31:32], v[3:4], v[35:36], -v[31:32]
	v_mul_f64 v[3:4], v[3:4], v[29:30]
	v_add_f64 v[39:40], v[39:40], v[64:65]
	v_fma_f64 v[29:30], v[37:38], v[35:36], v[3:4]
	v_fma_f64 v[37:38], v[136:137], s[4:5], -v[226:227]
	v_fma_f64 v[35:36], v[132:133], s[20:21], -v[224:225]
	;; [unrolled: 1-line block ×3, first 2 shown]
	v_add_f64 v[37:38], v[37:38], v[39:40]
	v_add_f64 v[35:36], v[35:36], v[37:38]
	;; [unrolled: 1-line block ×4, first 2 shown]
	v_add_u32_e32 v33, 0x41, v0
	v_mul_lo_u32 v64, v53, v33
	v_bfe_u32 v33, v64, 16, 8
	v_lshlrev_b32_sdwa v37, v245, v64 dst_sel:DWORD dst_unused:UNUSED_PAD src0_sel:DWORD src1_sel:BYTE_0
	v_bfe_u32 v64, v64, 8, 8
	v_lshl_or_b32 v33, v33, 4, v244
	v_lshl_or_b32 v64, v64, 4, v246
	global_load_dwordx4 v[33:36], v33, s[12:13]
	s_nop 0
	global_load_dwordx4 v[37:40], v37, s[12:13]
	s_nop 0
	global_load_dwordx4 v[186:189], v64, s[12:13]
	s_waitcnt vmcnt(0)
	v_mul_f64 v[64:65], v[39:40], v[188:189]
	v_fma_f64 v[64:65], v[37:38], v[186:187], -v[64:65]
	v_mul_f64 v[37:38], v[37:38], v[188:189]
	v_fma_f64 v[37:38], v[39:40], v[186:187], v[37:38]
	v_fma_f64 v[186:187], v[126:127], s[18:19], v[218:219]
	v_mul_f64 v[39:40], v[37:38], v[35:36]
	v_add_f64 v[186:187], v[9:10], v[186:187]
	v_mul_f64 v[35:36], v[64:65], v[35:36]
	v_fma_f64 v[39:40], v[33:34], v[64:65], -v[39:40]
	v_add_f64 v[154:155], v[154:155], v[186:187]
	v_fma_f64 v[33:34], v[33:34], v[37:38], v[35:36]
	v_fma_f64 v[64:65], v[136:137], s[0:1], -v[200:201]
	v_fma_f64 v[37:38], v[104:105], s[20:21], -v[196:197]
	v_add_f64 v[142:143], v[142:143], v[154:155]
	v_fma_f64 v[154:155], v[114:115], s[6:7], v[210:211]
	v_add_f64 v[138:139], v[138:139], v[142:143]
	v_fma_f64 v[142:143], v[110:111], s[20:21], v[208:209]
	;; [unrolled: 2-line block ×3, first 2 shown]
	v_add_f64 v[124:125], v[124:125], v[128:129]
	v_fma_f64 v[128:129], v[144:145], s[14:15], -v[204:205]
	v_mul_f64 v[35:36], v[124:125], v[33:34]
	v_add_f64 v[128:129], v[11:12], v[128:129]
	v_fma_f64 v[35:36], v[3:4], v[39:40], -v[35:36]
	v_mul_f64 v[3:4], v[3:4], v[33:34]
	v_fma_f64 v[33:34], v[124:125], v[39:40], v[3:4]
	v_fma_f64 v[124:125], v[140:141], s[18:19], -v[202:203]
	v_fma_f64 v[39:40], v[132:133], s[6:7], -v[198:199]
	;; [unrolled: 1-line block ×3, first 2 shown]
	v_add_f64 v[124:125], v[124:125], v[128:129]
	v_add_f64 v[64:65], v[64:65], v[124:125]
	;; [unrolled: 1-line block ×5, first 2 shown]
	v_add_u32_e32 v37, 52, v0
	v_mul_lo_u32 v64, v53, v37
	v_bfe_u32 v37, v64, 16, 8
	v_lshlrev_b32_sdwa v65, v245, v64 dst_sel:DWORD dst_unused:UNUSED_PAD src0_sel:DWORD src1_sel:BYTE_0
	v_bfe_u32 v64, v64, 8, 8
	v_lshl_or_b32 v37, v37, 4, v244
	v_lshl_or_b32 v64, v64, 4, v246
	global_load_dwordx4 v[37:40], v37, s[12:13]
	s_nop 0
	global_load_dwordx4 v[190:193], v64, s[12:13]
	global_load_dwordx4 v[186:189], v65, s[12:13]
	s_waitcnt vmcnt(0)
	v_mul_f64 v[64:65], v[188:189], v[192:193]
	v_mul_f64 v[124:125], v[186:187], v[192:193]
	v_fma_f64 v[64:65], v[186:187], v[190:191], -v[64:65]
	v_fma_f64 v[124:125], v[188:189], v[190:191], v[124:125]
	v_fma_f64 v[190:191], v[126:127], s[14:15], v[216:217]
	;; [unrolled: 1-line block ×4, first 2 shown]
	v_mul_f64 v[128:129], v[124:125], v[39:40]
	v_add_f64 v[190:191], v[9:10], v[190:191]
	v_mul_f64 v[39:40], v[64:65], v[39:40]
	v_fma_f64 v[128:129], v[37:38], v[64:65], -v[128:129]
	v_add_f64 v[188:189], v[188:189], v[190:191]
	v_fma_f64 v[37:38], v[37:38], v[124:125], v[39:40]
	v_fma_f64 v[124:125], v[140:141], s[20:21], -v[170:171]
	v_fma_f64 v[64:65], v[136:137], s[14:15], -v[168:169]
	v_add_f64 v[186:187], v[186:187], v[188:189]
	v_add_f64 v[154:155], v[154:155], v[186:187]
	;; [unrolled: 1-line block ×3, first 2 shown]
	v_fma_f64 v[154:155], v[114:115], s[0:1], v[178:179]
	v_add_f64 v[138:139], v[138:139], v[142:143]
	v_fma_f64 v[142:143], v[110:111], s[4:5], v[176:177]
	v_mul_f64 v[39:40], v[138:139], v[37:38]
	v_fma_f64 v[39:40], v[3:4], v[128:129], -v[39:40]
	v_mul_f64 v[3:4], v[3:4], v[37:38]
	v_fma_f64 v[37:38], v[138:139], v[128:129], v[3:4]
	v_fma_f64 v[128:129], v[144:145], s[6:7], -v[172:173]
	v_fma_f64 v[3:4], v[51:52], s[18:19], -v[41:42]
	;; [unrolled: 1-line block ×4, first 2 shown]
	v_fma_f64 v[138:139], v[106:107], s[18:19], v[174:175]
	v_add_f64 v[128:129], v[11:12], v[128:129]
	v_add_f64 v[124:125], v[124:125], v[128:129]
	;; [unrolled: 1-line block ×6, first 2 shown]
	v_add_u32_e32 v41, 39, v0
	v_mul_lo_u32 v64, v53, v41
	v_bfe_u32 v41, v64, 16, 8
	v_lshlrev_b32_sdwa v65, v245, v64 dst_sel:DWORD dst_unused:UNUSED_PAD src0_sel:DWORD src1_sel:BYTE_0
	v_bfe_u32 v64, v64, 8, 8
	v_lshl_or_b32 v41, v41, 4, v244
	v_lshl_or_b32 v64, v64, 4, v246
	global_load_dwordx4 v[41:44], v41, s[12:13]
	s_nop 0
	global_load_dwordx4 v[170:173], v64, s[12:13]
	global_load_dwordx4 v[166:169], v65, s[12:13]
	s_waitcnt vmcnt(0)
	v_mul_f64 v[64:65], v[168:169], v[172:173]
	v_mul_f64 v[124:125], v[166:167], v[172:173]
	v_fma_f64 v[64:65], v[166:167], v[170:171], -v[64:65]
	v_fma_f64 v[124:125], v[168:169], v[170:171], v[124:125]
	v_fma_f64 v[170:171], v[126:127], s[6:7], v[184:185]
	v_fma_f64 v[168:169], v[122:123], s[20:21], v[182:183]
	v_fma_f64 v[166:167], v[118:119], s[14:15], v[180:181]
	v_mul_f64 v[128:129], v[124:125], v[43:44]
	v_add_f64 v[170:171], v[9:10], v[170:171]
	v_mul_f64 v[43:44], v[64:65], v[43:44]
	v_fma_f64 v[128:129], v[41:42], v[64:65], -v[128:129]
	v_add_f64 v[168:169], v[168:169], v[170:171]
	v_fma_f64 v[41:42], v[41:42], v[124:125], v[43:44]
	v_fma_f64 v[124:125], v[140:141], s[14:15], -v[150:151]
	v_fma_f64 v[64:65], v[136:137], s[20:21], -v[148:149]
	v_add_f64 v[166:167], v[166:167], v[168:169]
	v_add_f64 v[154:155], v[154:155], v[166:167]
	;; [unrolled: 1-line block ×4, first 2 shown]
	v_fma_f64 v[142:143], v[118:119], s[20:21], v[160:161]
	v_mul_f64 v[43:44], v[138:139], v[41:42]
	v_fma_f64 v[43:44], v[3:4], v[128:129], -v[43:44]
	v_mul_f64 v[3:4], v[3:4], v[41:42]
	v_fma_f64 v[41:42], v[138:139], v[128:129], v[3:4]
	v_fma_f64 v[128:129], v[144:145], s[4:5], -v[152:153]
	v_fma_f64 v[3:4], v[51:52], s[0:1], -v[45:46]
	v_fma_f64 v[45:46], v[104:105], s[6:7], -v[47:48]
	v_fma_f64 v[47:48], v[132:133], s[18:19], -v[146:147]
	v_fma_f64 v[138:139], v[114:115], s[18:19], v[158:159]
	v_add_f64 v[128:129], v[11:12], v[128:129]
	v_add_f64 v[124:125], v[124:125], v[128:129]
	;; [unrolled: 1-line block ×6, first 2 shown]
	v_add_u32_e32 v45, 26, v0
	v_mul_lo_u32 v64, v53, v45
	v_bfe_u32 v45, v64, 16, 8
	v_lshlrev_b32_sdwa v65, v245, v64 dst_sel:DWORD dst_unused:UNUSED_PAD src0_sel:DWORD src1_sel:BYTE_0
	v_bfe_u32 v64, v64, 8, 8
	v_lshl_or_b32 v45, v45, 4, v244
	v_lshl_or_b32 v64, v64, 4, v246
	global_load_dwordx4 v[45:48], v45, s[12:13]
	s_nop 0
	global_load_dwordx4 v[150:153], v64, s[12:13]
	global_load_dwordx4 v[146:149], v65, s[12:13]
	s_waitcnt vmcnt(0)
	v_mul_f64 v[124:125], v[146:147], v[152:153]
	v_mul_f64 v[64:65], v[148:149], v[152:153]
	v_fma_f64 v[124:125], v[148:149], v[150:151], v[124:125]
	v_fma_f64 v[148:149], v[126:127], s[4:5], v[164:165]
	v_fma_f64 v[64:65], v[146:147], v[150:151], -v[64:65]
	v_fma_f64 v[146:147], v[122:123], s[14:15], v[162:163]
	v_mul_f64 v[128:129], v[124:125], v[47:48]
	v_add_f64 v[148:149], v[9:10], v[148:149]
	v_mul_f64 v[47:48], v[64:65], v[47:48]
	v_add_f64 v[9:10], v[9:10], v[76:77]
	v_fma_f64 v[128:129], v[45:46], v[64:65], -v[128:129]
	v_add_f64 v[146:147], v[146:147], v[148:149]
	v_fma_f64 v[45:46], v[45:46], v[124:125], v[47:48]
	v_fma_f64 v[64:65], v[118:119], s[6:7], v[120:121]
	v_add_f64 v[9:10], v[9:10], v[74:75]
	v_add_f64 v[142:143], v[142:143], v[146:147]
	;; [unrolled: 1-line block ×8, first 2 shown]
	v_fma_f64 v[49:50], v[132:133], s[14:15], -v[130:131]
	v_mul_f64 v[47:48], v[1:2], v[45:46]
	v_fma_f64 v[47:48], v[3:4], v[128:129], -v[47:48]
	v_mul_f64 v[3:4], v[3:4], v[45:46]
	v_fma_f64 v[45:46], v[1:2], v[128:129], v[3:4]
	v_fma_f64 v[1:2], v[51:52], s[20:21], -v[62:63]
	v_fma_f64 v[51:52], v[136:137], s[6:7], -v[134:135]
	;; [unrolled: 1-line block ×3, first 2 shown]
	v_fma_f64 v[62:63], v[114:115], s[14:15], v[116:117]
	v_add_f64 v[51:52], v[51:52], v[54:55]
	v_add_f64 v[58:59], v[62:63], v[58:59]
	v_add_f64 v[49:50], v[49:50], v[51:52]
	v_add_f64 v[56:57], v[56:57], v[58:59]
	v_add_f64 v[3:4], v[3:4], v[49:50]
	v_add_f64 v[49:50], v[1:2], v[3:4]
	v_add_u32_e32 v1, 13, v0
	v_mul_lo_u32 v1, v53, v1
	v_bfe_u32 v2, v1, 16, 8
	v_lshl_or_b32 v2, v2, 4, v244
	global_load_dwordx4 v[102:105], v2, s[12:13]
	v_lshlrev_b32_sdwa v2, v245, v1 dst_sel:DWORD dst_unused:UNUSED_PAD src0_sel:DWORD src1_sel:BYTE_0
	v_bfe_u32 v1, v1, 8, 8
	v_lshl_or_b32 v1, v1, 4, v246
	global_load_dwordx4 v[130:133], v2, s[12:13]
	global_load_dwordx4 v[134:137], v1, s[12:13]
	s_waitcnt vmcnt(0)
	v_mul_f64 v[3:4], v[130:131], v[136:137]
	v_mul_f64 v[1:2], v[132:133], v[136:137]
	v_fma_f64 v[3:4], v[132:133], v[134:135], v[3:4]
	v_fma_f64 v[1:2], v[130:131], v[134:135], -v[1:2]
	v_mul_f64 v[51:52], v[3:4], v[104:105]
	v_fma_f64 v[54:55], v[102:103], v[1:2], -v[51:52]
	v_fma_f64 v[51:52], v[106:107], s[20:21], v[108:109]
	v_mul_f64 v[1:2], v[1:2], v[104:105]
	v_add_f64 v[56:57], v[51:52], v[56:57]
	v_fma_f64 v[1:2], v[102:103], v[3:4], v[1:2]
	v_mul_f64 v[3:4], v[56:57], v[1:2]
	v_mul_f64 v[1:2], v[49:50], v[1:2]
	v_fma_f64 v[51:52], v[49:50], v[54:55], -v[3:4]
	v_fma_f64 v[49:50], v[56:57], v[54:55], v[1:2]
	v_add_f64 v[1:2], v[11:12], v[100:101]
	v_add_f64 v[1:2], v[1:2], v[96:97]
	;; [unrolled: 1-line block ×12, first 2 shown]
	v_mul_lo_u32 v1, v53, v0
	v_bfe_u32 v2, v1, 16, 8
	v_lshl_or_b32 v2, v2, 4, v244
	global_load_dwordx4 v[78:81], v2, s[12:13]
	v_lshlrev_b32_sdwa v2, v245, v1 dst_sel:DWORD dst_unused:UNUSED_PAD src0_sel:DWORD src1_sel:BYTE_0
	v_bfe_u32 v1, v1, 8, 8
	v_lshl_or_b32 v1, v1, 4, v246
	global_load_dwordx4 v[82:85], v2, s[12:13]
	global_load_dwordx4 v[86:89], v1, s[12:13]
	buffer_load_dword v55, off, s[56:59], 0 offset:56 ; 4-byte Folded Reload
	buffer_load_dword v56, off, s[56:59], 0 offset:60 ; 4-byte Folded Reload
	s_waitcnt vmcnt(2)
	v_mul_f64 v[3:4], v[82:83], v[88:89]
	s_waitcnt vmcnt(0)
	v_add_f64 v[9:10], v[9:10], v[55:56]
	buffer_load_dword v55, off, s[56:59], 0 offset:48 ; 4-byte Folded Reload
	buffer_load_dword v56, off, s[56:59], 0 offset:52 ; 4-byte Folded Reload
	v_mul_f64 v[1:2], v[84:85], v[88:89]
	v_fma_f64 v[3:4], v[84:85], v[86:87], v[3:4]
	v_fma_f64 v[1:2], v[82:83], v[86:87], -v[1:2]
	v_mul_f64 v[53:54], v[3:4], v[80:81]
	v_fma_f64 v[53:54], v[78:79], v[1:2], -v[53:54]
	v_mul_f64 v[1:2], v[1:2], v[80:81]
	v_fma_f64 v[1:2], v[78:79], v[3:4], v[1:2]
	s_waitcnt vmcnt(0)
	v_add_f64 v[9:10], v[9:10], v[55:56]
	buffer_load_dword v55, off, s[56:59], 0 offset:40 ; 4-byte Folded Reload
	buffer_load_dword v56, off, s[56:59], 0 offset:44 ; 4-byte Folded Reload
	s_waitcnt vmcnt(0)
	v_add_f64 v[9:10], v[9:10], v[55:56]
	buffer_load_dword v55, off, s[56:59], 0 offset:32 ; 4-byte Folded Reload
	buffer_load_dword v56, off, s[56:59], 0 offset:36 ; 4-byte Folded Reload
	;; [unrolled: 4-line block ×3, first 2 shown]
	v_add_f64 v[9:10], v[9:10], v[68:69]
	s_waitcnt vmcnt(0)
	v_add_f64 v[9:10], v[9:10], v[55:56]
	buffer_load_dword v55, off, s[56:59], 0 offset:16 ; 4-byte Folded Reload
	buffer_load_dword v56, off, s[56:59], 0 offset:20 ; 4-byte Folded Reload
	s_waitcnt vmcnt(0)
	v_add_f64 v[9:10], v[9:10], v[55:56]
	v_add_f64 v[9:10], v[9:10], v[66:67]
	v_mul_f64 v[3:4], v[9:10], v[1:2]
	v_mul_f64 v[1:2], v[11:12], v[1:2]
	v_fma_f64 v[55:56], v[11:12], v[53:54], -v[3:4]
	v_fma_f64 v[53:54], v[9:10], v[53:54], v[1:2]
	v_mad_u64_u32 v[1:2], s[0:1], s10, v255, 0
                                        ; kill: def $vgpr3 killed $sgpr0 killed $exec
	v_mad_u64_u32 v[2:3], s[0:1], s11, v255, v[2:3]
	s_movk_i32 s0, 0x1a5
	v_mul_u32_u24_sdwa v3, v156, s0 dst_sel:DWORD dst_unused:UNUSED_PAD src0_sel:WORD_0 src1_sel:DWORD
	s_movk_i32 s0, 0xa9
	v_mul_lo_u16_sdwa v3, v3, s0 dst_sel:DWORD dst_unused:UNUSED_PAD src0_sel:WORD_1 src1_sel:DWORD
	v_add_u32_e32 v9, v0, v3
	v_mad_u64_u32 v[3:4], s[0:1], s8, v9, 0
	v_mov_b32_e32 v0, v4
	v_mad_u64_u32 v[10:11], s[0:1], s9, v9, v[0:1]
	s_lshl_b64 s[0:1], s[2:3], 4
	s_add_u32 s0, s16, s0
	v_lshlrev_b64 v[0:1], 4, v[1:2]
	s_addc_u32 s1, s17, s1
	v_mov_b32_e32 v4, v10
	v_add_co_u32_e32 v0, vcc, s0, v0
	v_mov_b32_e32 v2, s1
	v_addc_co_u32_e32 v10, vcc, v2, v1, vcc
	v_lshlrev_b64 v[1:2], 4, v[3:4]
	v_add_u32_e32 v3, 13, v9
	v_add_co_u32_e32 v1, vcc, v0, v1
	v_addc_co_u32_e32 v2, vcc, v10, v2, vcc
	global_store_dwordx4 v[1:2], v[53:56], off
	v_mad_u64_u32 v[1:2], s[0:1], s8, v3, 0
	v_mad_u64_u32 v[2:3], s[0:1], s9, v3, v[2:3]
	v_add_u32_e32 v3, 26, v9
	v_lshlrev_b64 v[1:2], 4, v[1:2]
	v_add_co_u32_e32 v1, vcc, v0, v1
	v_addc_co_u32_e32 v2, vcc, v10, v2, vcc
	global_store_dwordx4 v[1:2], v[49:52], off
	v_mad_u64_u32 v[1:2], s[0:1], s8, v3, 0
	v_mad_u64_u32 v[2:3], s[0:1], s9, v3, v[2:3]
	v_add_u32_e32 v3, 39, v9
	v_lshlrev_b64 v[1:2], 4, v[1:2]
	;; [unrolled: 7-line block ×11, first 2 shown]
	v_add_co_u32_e32 v1, vcc, v0, v1
	v_addc_co_u32_e32 v2, vcc, v10, v2, vcc
	global_store_dwordx4 v[1:2], v[5:8], off
	v_mad_u64_u32 v[1:2], s[0:1], s8, v3, 0
	v_mad_u64_u32 v[2:3], s[0:1], s9, v3, v[2:3]
	v_lshlrev_b64 v[1:2], 4, v[1:2]
	v_add_co_u32_e32 v0, vcc, v0, v1
	v_addc_co_u32_e32 v1, vcc, v10, v2, vcc
	buffer_load_dword v2, off, s[56:59], 0  ; 4-byte Folded Reload
	buffer_load_dword v3, off, s[56:59], 0 offset:4 ; 4-byte Folded Reload
	buffer_load_dword v4, off, s[56:59], 0 offset:8 ; 4-byte Folded Reload
	;; [unrolled: 1-line block ×3, first 2 shown]
	s_waitcnt vmcnt(0)
	global_store_dwordx4 v[0:1], v[2:5], off
.LBB0_16:
	s_endpgm
	.section	.rodata,"a",@progbits
	.p2align	6, 0x0
	.amdhsa_kernel fft_rtc_back_len169_factors_13_13_wgs_156_tpt_13_dp_ip_CI_sbcc_twdbase8_3step_dirReg
		.amdhsa_group_segment_fixed_size 0
		.amdhsa_private_segment_fixed_size 68
		.amdhsa_kernarg_size 96
		.amdhsa_user_sgpr_count 6
		.amdhsa_user_sgpr_private_segment_buffer 1
		.amdhsa_user_sgpr_dispatch_ptr 0
		.amdhsa_user_sgpr_queue_ptr 0
		.amdhsa_user_sgpr_kernarg_segment_ptr 1
		.amdhsa_user_sgpr_dispatch_id 0
		.amdhsa_user_sgpr_flat_scratch_init 0
		.amdhsa_user_sgpr_private_segment_size 0
		.amdhsa_uses_dynamic_stack 0
		.amdhsa_system_sgpr_private_segment_wavefront_offset 1
		.amdhsa_system_sgpr_workgroup_id_x 1
		.amdhsa_system_sgpr_workgroup_id_y 0
		.amdhsa_system_sgpr_workgroup_id_z 0
		.amdhsa_system_sgpr_workgroup_info 0
		.amdhsa_system_vgpr_workitem_id 0
		.amdhsa_next_free_vgpr 256
		.amdhsa_next_free_sgpr 60
		.amdhsa_reserve_vcc 1
		.amdhsa_reserve_flat_scratch 0
		.amdhsa_float_round_mode_32 0
		.amdhsa_float_round_mode_16_64 0
		.amdhsa_float_denorm_mode_32 3
		.amdhsa_float_denorm_mode_16_64 3
		.amdhsa_dx10_clamp 1
		.amdhsa_ieee_mode 1
		.amdhsa_fp16_overflow 0
		.amdhsa_exception_fp_ieee_invalid_op 0
		.amdhsa_exception_fp_denorm_src 0
		.amdhsa_exception_fp_ieee_div_zero 0
		.amdhsa_exception_fp_ieee_overflow 0
		.amdhsa_exception_fp_ieee_underflow 0
		.amdhsa_exception_fp_ieee_inexact 0
		.amdhsa_exception_int_div_zero 0
	.end_amdhsa_kernel
	.text
.Lfunc_end0:
	.size	fft_rtc_back_len169_factors_13_13_wgs_156_tpt_13_dp_ip_CI_sbcc_twdbase8_3step_dirReg, .Lfunc_end0-fft_rtc_back_len169_factors_13_13_wgs_156_tpt_13_dp_ip_CI_sbcc_twdbase8_3step_dirReg
                                        ; -- End function
	.section	.AMDGPU.csdata,"",@progbits
; Kernel info:
; codeLenInByte = 13392
; NumSgprs: 64
; NumVgprs: 256
; ScratchSize: 68
; MemoryBound: 1
; FloatMode: 240
; IeeeMode: 1
; LDSByteSize: 0 bytes/workgroup (compile time only)
; SGPRBlocks: 7
; VGPRBlocks: 63
; NumSGPRsForWavesPerEU: 64
; NumVGPRsForWavesPerEU: 256
; Occupancy: 1
; WaveLimiterHint : 1
; COMPUTE_PGM_RSRC2:SCRATCH_EN: 1
; COMPUTE_PGM_RSRC2:USER_SGPR: 6
; COMPUTE_PGM_RSRC2:TRAP_HANDLER: 0
; COMPUTE_PGM_RSRC2:TGID_X_EN: 1
; COMPUTE_PGM_RSRC2:TGID_Y_EN: 0
; COMPUTE_PGM_RSRC2:TGID_Z_EN: 0
; COMPUTE_PGM_RSRC2:TIDIG_COMP_CNT: 0
	.type	__hip_cuid_beb4826b7371a159,@object ; @__hip_cuid_beb4826b7371a159
	.section	.bss,"aw",@nobits
	.globl	__hip_cuid_beb4826b7371a159
__hip_cuid_beb4826b7371a159:
	.byte	0                               ; 0x0
	.size	__hip_cuid_beb4826b7371a159, 1

	.ident	"AMD clang version 19.0.0git (https://github.com/RadeonOpenCompute/llvm-project roc-6.4.0 25133 c7fe45cf4b819c5991fe208aaa96edf142730f1d)"
	.section	".note.GNU-stack","",@progbits
	.addrsig
	.addrsig_sym __hip_cuid_beb4826b7371a159
	.amdgpu_metadata
---
amdhsa.kernels:
  - .args:
      - .actual_access:  read_only
        .address_space:  global
        .offset:         0
        .size:           8
        .value_kind:     global_buffer
      - .address_space:  global
        .offset:         8
        .size:           8
        .value_kind:     global_buffer
      - .offset:         16
        .size:           8
        .value_kind:     by_value
      - .actual_access:  read_only
        .address_space:  global
        .offset:         24
        .size:           8
        .value_kind:     global_buffer
      - .actual_access:  read_only
        .address_space:  global
        .offset:         32
        .size:           8
        .value_kind:     global_buffer
      - .offset:         40
        .size:           8
        .value_kind:     by_value
      - .actual_access:  read_only
        .address_space:  global
        .offset:         48
        .size:           8
        .value_kind:     global_buffer
      - .actual_access:  read_only
        .address_space:  global
        .offset:         56
        .size:           8
        .value_kind:     global_buffer
      - .offset:         64
        .size:           4
        .value_kind:     by_value
      - .actual_access:  read_only
        .address_space:  global
        .offset:         72
        .size:           8
        .value_kind:     global_buffer
      - .actual_access:  read_only
        .address_space:  global
        .offset:         80
        .size:           8
        .value_kind:     global_buffer
      - .address_space:  global
        .offset:         88
        .size:           8
        .value_kind:     global_buffer
    .group_segment_fixed_size: 0
    .kernarg_segment_align: 8
    .kernarg_segment_size: 96
    .language:       OpenCL C
    .language_version:
      - 2
      - 0
    .max_flat_workgroup_size: 156
    .name:           fft_rtc_back_len169_factors_13_13_wgs_156_tpt_13_dp_ip_CI_sbcc_twdbase8_3step_dirReg
    .private_segment_fixed_size: 68
    .sgpr_count:     64
    .sgpr_spill_count: 0
    .symbol:         fft_rtc_back_len169_factors_13_13_wgs_156_tpt_13_dp_ip_CI_sbcc_twdbase8_3step_dirReg.kd
    .uniform_work_group_size: 1
    .uses_dynamic_stack: false
    .vgpr_count:     256
    .vgpr_spill_count: 16
    .wavefront_size: 64
amdhsa.target:   amdgcn-amd-amdhsa--gfx906
amdhsa.version:
  - 1
  - 2
...

	.end_amdgpu_metadata
